;; amdgpu-corpus repo=ROCm/rocFFT kind=compiled arch=gfx1030 opt=O3
	.text
	.amdgcn_target "amdgcn-amd-amdhsa--gfx1030"
	.amdhsa_code_object_version 6
	.protected	fft_rtc_back_len1870_factors_17_10_11_wgs_187_tpt_187_halfLds_dp_ip_CI_unitstride_sbrr_dirReg ; -- Begin function fft_rtc_back_len1870_factors_17_10_11_wgs_187_tpt_187_halfLds_dp_ip_CI_unitstride_sbrr_dirReg
	.globl	fft_rtc_back_len1870_factors_17_10_11_wgs_187_tpt_187_halfLds_dp_ip_CI_unitstride_sbrr_dirReg
	.p2align	8
	.type	fft_rtc_back_len1870_factors_17_10_11_wgs_187_tpt_187_halfLds_dp_ip_CI_unitstride_sbrr_dirReg,@function
fft_rtc_back_len1870_factors_17_10_11_wgs_187_tpt_187_halfLds_dp_ip_CI_unitstride_sbrr_dirReg: ; @fft_rtc_back_len1870_factors_17_10_11_wgs_187_tpt_187_halfLds_dp_ip_CI_unitstride_sbrr_dirReg
; %bb.0:
	s_clause 0x2
	s_load_dwordx4 s[8:11], s[4:5], 0x0
	s_load_dwordx2 s[2:3], s[4:5], 0x50
	s_load_dwordx2 s[12:13], s[4:5], 0x18
	v_mul_u32_u24_e32 v1, 0x15f, v0
	v_mov_b32_e32 v3, 0
	v_add_nc_u32_sdwa v5, s6, v1 dst_sel:DWORD dst_unused:UNUSED_PAD src0_sel:DWORD src1_sel:WORD_1
	v_mov_b32_e32 v1, 0
	v_mov_b32_e32 v6, v3
	v_mov_b32_e32 v2, 0
	s_waitcnt lgkmcnt(0)
	v_cmp_lt_u64_e64 s0, s[10:11], 2
	s_and_b32 vcc_lo, exec_lo, s0
	s_cbranch_vccnz .LBB0_8
; %bb.1:
	s_load_dwordx2 s[0:1], s[4:5], 0x10
	v_mov_b32_e32 v1, 0
	s_add_u32 s6, s12, 8
	v_mov_b32_e32 v2, 0
	s_addc_u32 s7, s13, 0
	s_mov_b64 s[16:17], 1
	s_waitcnt lgkmcnt(0)
	s_add_u32 s14, s0, 8
	s_addc_u32 s15, s1, 0
.LBB0_2:                                ; =>This Inner Loop Header: Depth=1
	s_load_dwordx2 s[18:19], s[14:15], 0x0
                                        ; implicit-def: $vgpr7_vgpr8
	s_mov_b32 s0, exec_lo
	s_waitcnt lgkmcnt(0)
	v_or_b32_e32 v4, s19, v6
	v_cmpx_ne_u64_e32 0, v[3:4]
	s_xor_b32 s1, exec_lo, s0
	s_cbranch_execz .LBB0_4
; %bb.3:                                ;   in Loop: Header=BB0_2 Depth=1
	v_cvt_f32_u32_e32 v4, s18
	v_cvt_f32_u32_e32 v7, s19
	s_sub_u32 s0, 0, s18
	s_subb_u32 s20, 0, s19
	v_fmac_f32_e32 v4, 0x4f800000, v7
	v_rcp_f32_e32 v4, v4
	v_mul_f32_e32 v4, 0x5f7ffffc, v4
	v_mul_f32_e32 v7, 0x2f800000, v4
	v_trunc_f32_e32 v7, v7
	v_fmac_f32_e32 v4, 0xcf800000, v7
	v_cvt_u32_f32_e32 v7, v7
	v_cvt_u32_f32_e32 v4, v4
	v_mul_lo_u32 v8, s0, v7
	v_mul_hi_u32 v9, s0, v4
	v_mul_lo_u32 v10, s20, v4
	v_add_nc_u32_e32 v8, v9, v8
	v_mul_lo_u32 v9, s0, v4
	v_add_nc_u32_e32 v8, v8, v10
	v_mul_hi_u32 v10, v4, v9
	v_mul_lo_u32 v11, v4, v8
	v_mul_hi_u32 v12, v4, v8
	v_mul_hi_u32 v13, v7, v9
	v_mul_lo_u32 v9, v7, v9
	v_mul_hi_u32 v14, v7, v8
	v_mul_lo_u32 v8, v7, v8
	v_add_co_u32 v10, vcc_lo, v10, v11
	v_add_co_ci_u32_e32 v11, vcc_lo, 0, v12, vcc_lo
	v_add_co_u32 v9, vcc_lo, v10, v9
	v_add_co_ci_u32_e32 v9, vcc_lo, v11, v13, vcc_lo
	v_add_co_ci_u32_e32 v10, vcc_lo, 0, v14, vcc_lo
	v_add_co_u32 v8, vcc_lo, v9, v8
	v_add_co_ci_u32_e32 v9, vcc_lo, 0, v10, vcc_lo
	v_add_co_u32 v4, vcc_lo, v4, v8
	v_add_co_ci_u32_e32 v7, vcc_lo, v7, v9, vcc_lo
	v_mul_hi_u32 v8, s0, v4
	v_mul_lo_u32 v10, s20, v4
	v_mul_lo_u32 v9, s0, v7
	v_add_nc_u32_e32 v8, v8, v9
	v_mul_lo_u32 v9, s0, v4
	v_add_nc_u32_e32 v8, v8, v10
	v_mul_hi_u32 v10, v4, v9
	v_mul_lo_u32 v11, v4, v8
	v_mul_hi_u32 v12, v4, v8
	v_mul_hi_u32 v13, v7, v9
	v_mul_lo_u32 v9, v7, v9
	v_mul_hi_u32 v14, v7, v8
	v_mul_lo_u32 v8, v7, v8
	v_add_co_u32 v10, vcc_lo, v10, v11
	v_add_co_ci_u32_e32 v11, vcc_lo, 0, v12, vcc_lo
	v_add_co_u32 v9, vcc_lo, v10, v9
	v_add_co_ci_u32_e32 v9, vcc_lo, v11, v13, vcc_lo
	v_add_co_ci_u32_e32 v10, vcc_lo, 0, v14, vcc_lo
	v_add_co_u32 v8, vcc_lo, v9, v8
	v_add_co_ci_u32_e32 v9, vcc_lo, 0, v10, vcc_lo
	v_add_co_u32 v4, vcc_lo, v4, v8
	v_add_co_ci_u32_e32 v11, vcc_lo, v7, v9, vcc_lo
	v_mul_hi_u32 v13, v5, v4
	v_mad_u64_u32 v[9:10], null, v6, v4, 0
	v_mad_u64_u32 v[7:8], null, v5, v11, 0
	;; [unrolled: 1-line block ×3, first 2 shown]
	v_add_co_u32 v4, vcc_lo, v13, v7
	v_add_co_ci_u32_e32 v7, vcc_lo, 0, v8, vcc_lo
	v_add_co_u32 v4, vcc_lo, v4, v9
	v_add_co_ci_u32_e32 v4, vcc_lo, v7, v10, vcc_lo
	v_add_co_ci_u32_e32 v7, vcc_lo, 0, v12, vcc_lo
	v_add_co_u32 v4, vcc_lo, v4, v11
	v_add_co_ci_u32_e32 v9, vcc_lo, 0, v7, vcc_lo
	v_mul_lo_u32 v10, s19, v4
	v_mad_u64_u32 v[7:8], null, s18, v4, 0
	v_mul_lo_u32 v11, s18, v9
	v_sub_co_u32 v7, vcc_lo, v5, v7
	v_add3_u32 v8, v8, v11, v10
	v_sub_nc_u32_e32 v10, v6, v8
	v_subrev_co_ci_u32_e64 v10, s0, s19, v10, vcc_lo
	v_add_co_u32 v11, s0, v4, 2
	v_add_co_ci_u32_e64 v12, s0, 0, v9, s0
	v_sub_co_u32 v13, s0, v7, s18
	v_sub_co_ci_u32_e32 v8, vcc_lo, v6, v8, vcc_lo
	v_subrev_co_ci_u32_e64 v10, s0, 0, v10, s0
	v_cmp_le_u32_e32 vcc_lo, s18, v13
	v_cmp_eq_u32_e64 s0, s19, v8
	v_cndmask_b32_e64 v13, 0, -1, vcc_lo
	v_cmp_le_u32_e32 vcc_lo, s19, v10
	v_cndmask_b32_e64 v14, 0, -1, vcc_lo
	v_cmp_le_u32_e32 vcc_lo, s18, v7
	;; [unrolled: 2-line block ×3, first 2 shown]
	v_cndmask_b32_e64 v15, 0, -1, vcc_lo
	v_cmp_eq_u32_e32 vcc_lo, s19, v10
	v_cndmask_b32_e64 v7, v15, v7, s0
	v_cndmask_b32_e32 v10, v14, v13, vcc_lo
	v_add_co_u32 v13, vcc_lo, v4, 1
	v_add_co_ci_u32_e32 v14, vcc_lo, 0, v9, vcc_lo
	v_cmp_ne_u32_e32 vcc_lo, 0, v10
	v_cndmask_b32_e32 v8, v14, v12, vcc_lo
	v_cndmask_b32_e32 v10, v13, v11, vcc_lo
	v_cmp_ne_u32_e32 vcc_lo, 0, v7
	v_cndmask_b32_e32 v8, v9, v8, vcc_lo
	v_cndmask_b32_e32 v7, v4, v10, vcc_lo
.LBB0_4:                                ;   in Loop: Header=BB0_2 Depth=1
	s_andn2_saveexec_b32 s0, s1
	s_cbranch_execz .LBB0_6
; %bb.5:                                ;   in Loop: Header=BB0_2 Depth=1
	v_cvt_f32_u32_e32 v4, s18
	s_sub_i32 s1, 0, s18
	v_rcp_iflag_f32_e32 v4, v4
	v_mul_f32_e32 v4, 0x4f7ffffe, v4
	v_cvt_u32_f32_e32 v4, v4
	v_mul_lo_u32 v7, s1, v4
	v_mul_hi_u32 v7, v4, v7
	v_add_nc_u32_e32 v4, v4, v7
	v_mul_hi_u32 v4, v5, v4
	v_mul_lo_u32 v7, v4, s18
	v_add_nc_u32_e32 v8, 1, v4
	v_sub_nc_u32_e32 v7, v5, v7
	v_subrev_nc_u32_e32 v9, s18, v7
	v_cmp_le_u32_e32 vcc_lo, s18, v7
	v_cndmask_b32_e32 v7, v7, v9, vcc_lo
	v_cndmask_b32_e32 v4, v4, v8, vcc_lo
	v_cmp_le_u32_e32 vcc_lo, s18, v7
	v_add_nc_u32_e32 v8, 1, v4
	v_cndmask_b32_e32 v7, v4, v8, vcc_lo
	v_mov_b32_e32 v8, v3
.LBB0_6:                                ;   in Loop: Header=BB0_2 Depth=1
	s_or_b32 exec_lo, exec_lo, s0
	s_load_dwordx2 s[0:1], s[6:7], 0x0
	v_mul_lo_u32 v4, v8, s18
	v_mul_lo_u32 v11, v7, s19
	v_mad_u64_u32 v[9:10], null, v7, s18, 0
	s_add_u32 s16, s16, 1
	s_addc_u32 s17, s17, 0
	s_add_u32 s6, s6, 8
	s_addc_u32 s7, s7, 0
	;; [unrolled: 2-line block ×3, first 2 shown]
	v_add3_u32 v4, v10, v11, v4
	v_sub_co_u32 v5, vcc_lo, v5, v9
	v_sub_co_ci_u32_e32 v4, vcc_lo, v6, v4, vcc_lo
	s_waitcnt lgkmcnt(0)
	v_mul_lo_u32 v6, s1, v5
	v_mul_lo_u32 v4, s0, v4
	v_mad_u64_u32 v[1:2], null, s0, v5, v[1:2]
	v_cmp_ge_u64_e64 s0, s[16:17], s[10:11]
	s_and_b32 vcc_lo, exec_lo, s0
	v_add3_u32 v2, v6, v2, v4
	s_cbranch_vccnz .LBB0_9
; %bb.7:                                ;   in Loop: Header=BB0_2 Depth=1
	v_mov_b32_e32 v5, v7
	v_mov_b32_e32 v6, v8
	s_branch .LBB0_2
.LBB0_8:
	v_mov_b32_e32 v8, v6
	v_mov_b32_e32 v7, v5
.LBB0_9:
	s_lshl_b64 s[0:1], s[10:11], 3
	v_mul_hi_u32 v3, 0x15e75bc, v0
	s_add_u32 s0, s12, s0
	s_addc_u32 s1, s13, s1
                                        ; implicit-def: $vgpr10_vgpr11
                                        ; implicit-def: $vgpr14_vgpr15
                                        ; implicit-def: $vgpr22_vgpr23
                                        ; implicit-def: $vgpr26_vgpr27
                                        ; implicit-def: $vgpr34_vgpr35
                                        ; implicit-def: $vgpr42_vgpr43
                                        ; implicit-def: $vgpr18_vgpr19
                                        ; implicit-def: $vgpr30_vgpr31
                                        ; implicit-def: $vgpr38_vgpr39
                                        ; implicit-def: $vgpr46_vgpr47
                                        ; implicit-def: $vgpr50_vgpr51
                                        ; implicit-def: $vgpr54_vgpr55
                                        ; implicit-def: $vgpr58_vgpr59
                                        ; implicit-def: $vgpr62_vgpr63
                                        ; implicit-def: $vgpr66_vgpr67
	s_load_dwordx2 s[0:1], s[0:1], 0x0
	s_load_dwordx2 s[4:5], s[4:5], 0x20
	v_mul_u32_u24_e32 v3, 0xbb, v3
	v_sub_nc_u32_e32 v88, v0, v3
	s_waitcnt lgkmcnt(0)
	v_mul_lo_u32 v4, s0, v8
	v_mul_lo_u32 v5, s1, v7
	v_mad_u64_u32 v[1:2], null, s0, v7, v[1:2]
	v_cmp_gt_u64_e32 vcc_lo, s[4:5], v[7:8]
	v_cmp_gt_u32_e64 s0, 0x6e, v88
                                        ; implicit-def: $vgpr6_vgpr7
	s_and_b32 s1, vcc_lo, s0
	v_add3_u32 v2, v5, v2, v4
	v_lshlrev_b64 v[90:91], 4, v[1:2]
                                        ; implicit-def: $vgpr2_vgpr3
	s_and_saveexec_b32 s4, s1
	s_cbranch_execz .LBB0_11
; %bb.10:
	v_mov_b32_e32 v89, 0
	v_add_co_u32 v2, s1, s2, v90
	v_add_co_ci_u32_e64 v3, s1, s3, v91, s1
	v_lshlrev_b64 v[0:1], 4, v[88:89]
	v_add_co_u32 v0, s1, v2, v0
	v_add_co_ci_u32_e64 v1, s1, v3, v1, s1
	v_add_co_u32 v2, s1, 0x800, v0
	v_add_co_ci_u32_e64 v3, s1, 0, v1, s1
	;; [unrolled: 2-line block ×3, first 2 shown]
	s_clause 0x3
	global_load_dwordx4 v[4:7], v[0:1], off
	global_load_dwordx4 v[64:67], v[0:1], off offset:1760
	global_load_dwordx4 v[60:63], v[2:3], off offset:1472
	;; [unrolled: 1-line block ×3, first 2 shown]
	v_add_co_u32 v2, s1, 0x1800, v0
	v_add_co_ci_u32_e64 v3, s1, 0, v1, s1
	v_add_co_u32 v8, s1, 0x2000, v0
	v_add_co_ci_u32_e64 v9, s1, 0, v1, s1
	v_add_co_u32 v10, s1, 0x2800, v0
	v_add_co_ci_u32_e64 v11, s1, 0, v1, s1
	v_add_co_u32 v12, s1, 0x3000, v0
	v_add_co_ci_u32_e64 v13, s1, 0, v1, s1
	v_add_co_u32 v14, s1, 0x3800, v0
	v_add_co_ci_u32_e64 v15, s1, 0, v1, s1
	s_clause 0x5
	global_load_dwordx4 v[52:55], v[2:3], off offset:896
	global_load_dwordx4 v[48:51], v[8:9], off offset:608
	;; [unrolled: 1-line block ×6, first 2 shown]
	v_add_co_u32 v2, s1, 0x4000, v0
	v_add_co_ci_u32_e64 v3, s1, 0, v1, s1
	v_add_co_u32 v8, s1, 0x4800, v0
	v_add_co_ci_u32_e64 v9, s1, 0, v1, s1
	;; [unrolled: 2-line block ×6, first 2 shown]
	s_clause 0x6
	global_load_dwordx4 v[40:43], v[2:3], off offset:1216
	global_load_dwordx4 v[32:35], v[8:9], off offset:928
	;; [unrolled: 1-line block ×7, first 2 shown]
.LBB0_11:
	s_or_b32 exec_lo, exec_lo, s4
	s_waitcnt vmcnt(0)
	v_add_f64 v[80:81], v[66:67], -v[2:3]
	s_mov_b32 s20, 0x4363dd80
	s_mov_b32 s21, 0xbfe0d888
	v_add_f64 v[104:105], v[0:1], v[64:65]
	v_add_f64 v[82:83], v[62:63], -v[10:11]
	s_mov_b32 s10, 0x910ea3b9
	s_mov_b32 s22, 0x7c9e640b
	s_mov_b32 s11, 0xbfeb34fa
	s_mov_b32 s23, 0x3feca52d
	v_add_f64 v[102:103], v[8:9], v[60:61]
	v_add_f64 v[76:77], v[58:59], -v[14:15]
	s_mov_b32 s12, 0x2b2883cd
	s_mov_b32 s26, 0xeb564b22
	;; [unrolled: 6-line block ×3, first 2 shown]
	s_mov_b32 s15, 0x3fb79ee6
	s_mov_b32 s29, 0x3fe9895b
	v_add_f64 v[98:99], v[20:21], v[52:53]
	v_mul_f64 v[108:109], v[80:81], s[20:21]
	v_add_f64 v[72:73], v[50:51], -v[26:27]
	s_mov_b32 s16, 0x6ed5f1bb
	s_mov_b32 s30, 0x5d8e7cdc
	v_mul_f64 v[114:115], v[82:83], s[22:23]
	s_mov_b32 s17, 0xbfe348c8
	s_mov_b32 s31, 0xbfd71e95
	v_add_f64 v[96:97], v[24:25], v[48:49]
	s_mov_b32 s18, 0x370991
	s_mov_b32 s34, 0xacd6c6b4
	v_mul_f64 v[112:113], v[76:77], s[26:27]
	s_mov_b32 s19, 0x3fedd6d0
	s_mov_b32 s35, 0xbfc7851a
	v_add_f64 v[94:95], v[32:33], v[44:45]
	;; [unrolled: 6-line block ×3, first 2 shown]
	s_mov_b32 s4, 0x75d4884
	s_mov_b32 s38, 0x923c349f
	v_fma_f64 v[68:69], v[104:105], s[10:11], -v[108:109]
	v_mul_f64 v[106:107], v[72:73], s[30:31]
	s_mov_b32 s5, 0x3fe7a5f6
	s_mov_b32 s39, 0xbfeec746
	v_fma_f64 v[74:75], v[102:103], s[12:13], -v[114:115]
	s_mov_b32 s6, 0xc61f0d01
	s_mov_b32 s7, 0xbfd183b1
	v_fma_f64 v[78:79], v[100:101], s[14:15], -v[112:113]
	v_fma_f64 v[84:85], v[98:99], s[16:17], -v[110:111]
	v_add_f64 v[68:69], v[4:5], v[68:69]
	v_fma_f64 v[92:93], v[96:97], s[18:19], -v[106:107]
	v_add_f64 v[68:69], v[74:75], v[68:69]
	v_add_f64 v[74:75], v[46:47], -v[34:35]
	v_add_f64 v[68:69], v[78:79], v[68:69]
	v_add_f64 v[78:79], v[38:39], -v[42:43]
	v_mul_f64 v[116:117], v[74:75], s[34:35]
	v_add_f64 v[68:69], v[84:85], v[68:69]
	v_mul_f64 v[118:119], v[78:79], s[36:37]
	v_fma_f64 v[120:121], v[94:95], s[24:25], -v[116:117]
	v_add_f64 v[84:85], v[16:17], v[28:29]
	v_add_f64 v[92:93], v[92:93], v[68:69]
	v_add_f64 v[68:69], v[30:31], -v[18:19]
	v_fma_f64 v[122:123], v[86:87], s[4:5], -v[118:119]
	v_add_f64 v[92:93], v[120:121], v[92:93]
	v_mul_f64 v[120:121], v[68:69], s[38:39]
	v_add_f64 v[92:93], v[122:123], v[92:93]
	v_fma_f64 v[122:123], v[84:85], s[6:7], -v[120:121]
	v_add_f64 v[92:93], v[122:123], v[92:93]
	s_and_saveexec_b32 s1, s0
	s_cbranch_execz .LBB0_13
; %bb.12:
	v_mul_f64 v[122:123], v[104:105], s[10:11]
	v_mul_f64 v[134:135], v[102:103], s[12:13]
	v_add_f64 v[140:141], v[64:65], v[4:5]
	v_mul_f64 v[124:125], v[104:105], s[24:25]
	v_mul_f64 v[126:127], v[104:105], s[16:17]
	;; [unrolled: 1-line block ×3, first 2 shown]
	s_mov_b32 s41, 0x3fc7851a
	s_mov_b32 s40, s34
	;; [unrolled: 1-line block ×6, first 2 shown]
	v_mul_f64 v[136:137], v[102:103], s[18:19]
	v_mul_f64 v[138:139], v[102:103], s[6:7]
	;; [unrolled: 1-line block ×4, first 2 shown]
	s_mov_b32 s45, 0x3fd71e95
	s_mov_b32 s44, s30
	;; [unrolled: 1-line block ×4, first 2 shown]
	v_mul_f64 v[144:145], v[104:105], s[14:15]
	v_mul_f64 v[158:159], v[100:101], s[10:11]
	v_add_f64 v[108:109], v[108:109], v[122:123]
	v_add_f64 v[114:115], v[114:115], v[134:135]
	;; [unrolled: 1-line block ×3, first 2 shown]
	v_fma_f64 v[146:147], v[80:81], s[40:41], v[124:125]
	v_fma_f64 v[124:125], v[80:81], s[34:35], v[124:125]
	;; [unrolled: 1-line block ×6, first 2 shown]
	v_mul_f64 v[160:161], v[100:101], s[18:19]
	v_mul_f64 v[168:169], v[100:101], s[4:5]
	v_mul_f64 v[166:167], v[98:99], s[16:17]
	v_fma_f64 v[140:141], v[82:83], s[30:31], v[136:137]
	v_fma_f64 v[136:137], v[82:83], s[44:45], v[136:137]
	;; [unrolled: 1-line block ×6, first 2 shown]
	v_add_f64 v[112:113], v[112:113], v[132:133]
	s_mov_b32 s49, 0x3fefdd0d
	s_mov_b32 s48, s26
	v_mul_f64 v[130:131], v[84:85], s[6:7]
	v_add_f64 v[108:109], v[4:5], v[108:109]
	v_mul_f64 v[150:151], v[102:103], s[24:25]
	v_add_f64 v[134:135], v[56:57], v[134:135]
	v_add_f64 v[146:147], v[4:5], v[146:147]
	;; [unrolled: 1-line block ×7, first 2 shown]
	v_fma_f64 v[156:157], v[80:81], s[48:49], v[144:145]
	v_fma_f64 v[132:133], v[80:81], s[26:27], v[144:145]
	s_mov_b32 s53, 0xbfe58eea
	s_mov_b32 s52, s36
	v_add_f64 v[110:111], v[110:111], v[166:167]
	v_mul_f64 v[162:163], v[86:87], s[4:5]
	v_mul_f64 v[170:171], v[100:101], s[6:7]
	s_mov_b32 s55, 0xbfeca52d
	s_mov_b32 s54, s22
	v_mul_f64 v[164:165], v[94:95], s[24:25]
	v_mad_u32_u24 v89, 0x88, v88, 0
	v_add_f64 v[120:121], v[120:121], v[130:131]
	v_add_f64 v[108:109], v[114:115], v[108:109]
	v_fma_f64 v[130:131], v[82:83], s[40:41], v[150:151]
	v_add_f64 v[134:135], v[52:53], v[134:135]
	v_add_f64 v[140:141], v[140:141], v[146:147]
	;; [unrolled: 1-line block ×5, first 2 shown]
	v_fma_f64 v[136:137], v[76:77], s[46:47], v[158:159]
	v_fma_f64 v[138:139], v[76:77], s[20:21], v[158:159]
	v_add_f64 v[128:129], v[142:143], v[128:129]
	v_fma_f64 v[142:143], v[76:77], s[44:45], v[160:161]
	v_mul_f64 v[146:147], v[98:99], s[4:5]
	v_add_f64 v[126:127], v[154:155], v[148:149]
	v_fma_f64 v[148:149], v[76:77], s[30:31], v[160:161]
	v_fma_f64 v[152:153], v[76:77], s[52:53], v[168:169]
	v_mul_f64 v[154:155], v[98:99], s[10:11]
	v_mul_f64 v[160:161], v[98:99], s[12:13]
	;; [unrolled: 1-line block ×3, first 2 shown]
	v_add_f64 v[144:145], v[4:5], v[156:157]
	v_fma_f64 v[156:157], v[76:77], s[36:37], v[168:169]
	v_fma_f64 v[150:151], v[82:83], s[34:35], v[150:151]
	v_add_f64 v[132:133], v[4:5], v[132:133]
	v_add_f64 v[108:109], v[112:113], v[108:109]
	;; [unrolled: 1-line block ×4, first 2 shown]
	v_mul_f64 v[162:163], v[98:99], s[18:19]
	v_add_f64 v[116:117], v[116:117], v[164:165]
	v_add_f64 v[136:137], v[136:137], v[140:141]
	;; [unrolled: 1-line block ×3, first 2 shown]
	v_mul_f64 v[138:139], v[96:97], s[16:17]
	v_add_f64 v[112:113], v[142:143], v[114:115]
	v_fma_f64 v[114:115], v[70:71], s[52:53], v[146:147]
	v_fma_f64 v[140:141], v[70:71], s[36:37], v[146:147]
	v_add_f64 v[122:123], v[148:149], v[122:123]
	v_add_f64 v[126:127], v[152:153], v[126:127]
	v_fma_f64 v[142:143], v[70:71], s[46:47], v[154:155]
	v_fma_f64 v[146:147], v[70:71], s[20:21], v[154:155]
	v_mul_f64 v[148:149], v[96:97], s[14:15]
	v_fma_f64 v[152:153], v[70:71], s[22:23], v[160:161]
	v_mul_f64 v[154:155], v[96:97], s[24:25]
	v_add_f64 v[106:107], v[106:107], v[158:159]
	v_add_f64 v[130:131], v[130:131], v[144:145]
	;; [unrolled: 1-line block ×3, first 2 shown]
	v_fma_f64 v[144:145], v[76:77], s[38:39], v[170:171]
	v_add_f64 v[110:111], v[44:45], v[134:135]
	v_add_f64 v[128:129], v[156:157], v[128:129]
	v_fma_f64 v[156:157], v[70:71], s[54:55], v[160:161]
	v_add_f64 v[132:133], v[150:151], v[132:133]
	v_fma_f64 v[150:151], v[76:77], s[50:51], v[170:171]
	v_mul_f64 v[158:159], v[104:105], s[12:13]
	v_mul_f64 v[134:135], v[104:105], s[4:5]
	;; [unrolled: 1-line block ×4, first 2 shown]
	v_add_f64 v[114:115], v[114:115], v[136:137]
	v_fma_f64 v[136:137], v[72:73], s[28:29], v[138:139]
	v_add_f64 v[124:125], v[140:141], v[124:125]
	v_fma_f64 v[138:139], v[72:73], s[42:43], v[138:139]
	v_add_f64 v[112:113], v[142:143], v[112:113]
	v_add_f64 v[122:123], v[146:147], v[122:123]
	v_fma_f64 v[140:141], v[72:73], s[26:27], v[148:149]
	v_fma_f64 v[142:143], v[72:73], s[48:49], v[148:149]
	v_add_f64 v[126:127], v[152:153], v[126:127]
	v_mul_f64 v[146:147], v[94:95], s[12:13]
	v_fma_f64 v[148:149], v[72:73], s[40:41], v[154:155]
	v_add_f64 v[106:107], v[106:107], v[108:109]
	v_add_f64 v[130:131], v[144:145], v[130:131]
	;; [unrolled: 1-line block ×3, first 2 shown]
	v_fma_f64 v[144:145], v[70:71], s[30:31], v[162:163]
	v_add_f64 v[128:129], v[156:157], v[128:129]
	v_fma_f64 v[152:153], v[72:73], s[34:35], v[154:155]
	v_add_f64 v[132:133], v[150:151], v[132:133]
	v_fma_f64 v[154:155], v[80:81], s[22:23], v[158:159]
	v_mul_f64 v[156:157], v[102:103], s[16:17]
	v_fma_f64 v[110:111], v[80:81], s[54:55], v[158:159]
	v_mul_f64 v[158:159], v[102:103], s[14:15]
	v_mul_f64 v[150:151], v[94:95], s[4:5]
	v_add_f64 v[114:115], v[136:137], v[114:115]
	v_fma_f64 v[136:137], v[70:71], s[44:45], v[162:163]
	v_add_f64 v[124:125], v[138:139], v[124:125]
	v_fma_f64 v[138:139], v[80:81], s[36:37], v[134:135]
	v_fma_f64 v[134:135], v[80:81], s[52:53], v[134:135]
	v_add_f64 v[112:113], v[140:141], v[112:113]
	v_add_f64 v[122:123], v[142:143], v[122:123]
	v_mul_f64 v[102:103], v[102:103], s[4:5]
	v_fma_f64 v[140:141], v[74:75], s[54:55], v[146:147]
	v_add_f64 v[126:127], v[148:149], v[126:127]
	v_fma_f64 v[142:143], v[74:75], s[22:23], v[146:147]
	v_mul_f64 v[146:147], v[94:95], s[14:15]
	v_fma_f64 v[148:149], v[80:81], s[44:45], v[104:105]
	v_fma_f64 v[80:81], v[80:81], s[30:31], v[104:105]
	v_add_f64 v[104:105], v[28:29], v[108:109]
	v_add_f64 v[130:131], v[144:145], v[130:131]
	v_fma_f64 v[144:145], v[72:73], s[22:23], v[160:161]
	v_add_f64 v[128:129], v[152:153], v[128:129]
	v_add_f64 v[152:153], v[4:5], v[154:155]
	v_fma_f64 v[154:155], v[82:83], s[28:29], v[156:157]
	v_mul_f64 v[162:163], v[100:101], s[24:25]
	v_add_f64 v[108:109], v[4:5], v[110:111]
	v_add_f64 v[106:107], v[116:117], v[106:107]
	;; [unrolled: 1-line block ×3, first 2 shown]
	v_fma_f64 v[136:137], v[82:83], s[42:43], v[156:157]
	v_add_f64 v[110:111], v[4:5], v[138:139]
	v_fma_f64 v[138:139], v[82:83], s[48:49], v[158:159]
	v_mul_f64 v[156:157], v[100:101], s[16:17]
	v_fma_f64 v[158:159], v[82:83], s[26:27], v[158:159]
	v_add_f64 v[134:135], v[4:5], v[134:135]
	v_add_f64 v[114:115], v[140:141], v[114:115]
	v_fma_f64 v[140:141], v[74:75], s[52:53], v[150:151]
	v_add_f64 v[124:125], v[142:143], v[124:125]
	v_fma_f64 v[116:117], v[74:75], s[26:27], v[146:147]
	;; [unrolled: 2-line block ×3, first 2 shown]
	v_mul_f64 v[100:101], v[100:101], s[12:13]
	v_fma_f64 v[82:83], v[82:83], s[52:53], v[102:103]
	v_add_f64 v[4:5], v[4:5], v[80:81]
	v_add_f64 v[80:81], v[16:17], v[104:105]
	v_add_f64 v[130:131], v[144:145], v[130:131]
	v_fma_f64 v[144:145], v[74:75], s[36:37], v[150:151]
	v_add_f64 v[150:151], v[154:155], v[152:153]
	v_fma_f64 v[152:153], v[76:77], s[34:35], v[162:163]
	v_mul_f64 v[154:155], v[98:99], s[6:7]
	v_fma_f64 v[104:105], v[76:77], s[40:41], v[162:163]
	v_add_f64 v[102:103], v[136:137], v[108:109]
	v_mul_f64 v[136:137], v[98:99], s[24:25]
	v_add_f64 v[108:109], v[138:139], v[110:111]
	v_fma_f64 v[110:111], v[76:77], s[28:29], v[156:157]
	v_fma_f64 v[138:139], v[76:77], s[42:43], v[156:157]
	v_add_f64 v[134:135], v[158:159], v[134:135]
	v_mul_f64 v[98:99], v[98:99], s[14:15]
	v_add_f64 v[122:123], v[140:141], v[122:123]
	v_fma_f64 v[140:141], v[74:75], s[48:49], v[146:147]
	;; [unrolled: 5-line block ×3, first 2 shown]
	v_fma_f64 v[76:77], v[76:77], s[54:55], v[100:101]
	v_add_f64 v[4:5], v[82:83], v[4:5]
	v_add_f64 v[80:81], v[40:41], v[80:81]
	;; [unrolled: 1-line block ×3, first 2 shown]
	v_mul_f64 v[144:145], v[94:95], s[10:11]
	v_mul_f64 v[158:159], v[86:87], s[24:25]
	v_add_f64 v[150:151], v[152:153], v[150:151]
	v_fma_f64 v[152:153], v[70:71], s[38:39], v[154:155]
	v_mul_f64 v[82:83], v[96:97], s[4:5]
	v_add_f64 v[100:101], v[104:105], v[102:103]
	v_fma_f64 v[102:103], v[70:71], s[50:51], v[154:155]
	v_add_f64 v[104:105], v[110:111], v[108:109]
	v_fma_f64 v[108:109], v[70:71], s[40:41], v[136:137]
	v_mul_f64 v[110:111], v[96:97], s[10:11]
	v_add_f64 v[134:135], v[138:139], v[134:135]
	v_fma_f64 v[136:137], v[70:71], s[34:35], v[136:137]
	v_add_f64 v[128:129], v[140:141], v[128:129]
	v_add_f64 v[132:133], v[146:147], v[132:133]
	v_fma_f64 v[146:147], v[70:71], s[48:49], v[98:99]
	v_fma_f64 v[140:141], v[78:79], s[50:51], v[126:127]
	v_mul_f64 v[96:97], v[96:97], s[6:7]
	v_add_f64 v[142:143], v[148:149], v[142:143]
	v_fma_f64 v[70:71], v[70:71], s[26:27], v[98:99]
	v_add_f64 v[4:5], v[76:77], v[4:5]
	v_add_f64 v[76:77], v[32:33], v[80:81]
	v_fma_f64 v[126:127], v[78:79], s[38:39], v[126:127]
	v_fma_f64 v[156:157], v[74:75], s[46:47], v[144:145]
	;; [unrolled: 1-line block ×3, first 2 shown]
	v_mul_f64 v[144:145], v[86:87], s[18:19]
	v_fma_f64 v[148:149], v[78:79], s[40:41], v[158:159]
	v_add_f64 v[80:81], v[152:153], v[150:151]
	v_fma_f64 v[98:99], v[72:73], s[52:53], v[82:83]
	v_mul_f64 v[150:151], v[94:95], s[18:19]
	v_add_f64 v[100:101], v[102:103], v[100:101]
	v_fma_f64 v[82:83], v[72:73], s[36:37], v[82:83]
	v_add_f64 v[102:103], v[108:109], v[104:105]
	v_fma_f64 v[104:105], v[72:73], s[20:21], v[110:111]
	v_add_f64 v[108:109], v[136:137], v[134:135]
	v_mul_f64 v[134:135], v[94:95], s[6:7]
	v_fma_f64 v[110:111], v[72:73], s[46:47], v[110:111]
	v_fma_f64 v[136:137], v[78:79], s[34:35], v[158:159]
	v_add_f64 v[114:115], v[140:141], v[114:115]
	v_mul_f64 v[94:95], v[94:95], s[16:17]
	v_add_f64 v[140:141], v[146:147], v[142:143]
	v_fma_f64 v[142:143], v[72:73], s[50:51], v[96:97]
	v_fma_f64 v[72:73], v[72:73], s[38:39], v[96:97]
	v_add_f64 v[4:5], v[70:71], v[4:5]
	v_add_f64 v[70:71], v[24:25], v[76:77]
	;; [unrolled: 1-line block ×4, first 2 shown]
	v_fma_f64 v[138:139], v[78:79], s[44:45], v[144:145]
	v_mul_f64 v[126:127], v[86:87], s[16:17]
	v_add_f64 v[76:77], v[118:119], v[106:107]
	v_add_f64 v[80:81], v[98:99], v[80:81]
	v_fma_f64 v[96:97], v[74:75], s[44:45], v[150:151]
	v_mul_f64 v[98:99], v[86:87], s[14:15]
	v_add_f64 v[82:83], v[82:83], v[100:101]
	v_fma_f64 v[100:101], v[74:75], s[30:31], v[150:151]
	v_add_f64 v[106:107], v[148:149], v[112:113]
	v_add_f64 v[102:103], v[104:105], v[102:103]
	v_fma_f64 v[112:113], v[74:75], s[50:51], v[134:135]
	v_add_f64 v[108:109], v[110:111], v[108:109]
	v_mul_f64 v[110:111], v[86:87], s[12:13]
	v_fma_f64 v[104:105], v[74:75], s[38:39], v[134:135]
	v_add_f64 v[118:119], v[136:137], v[122:123]
	v_fma_f64 v[122:123], v[78:79], s[30:31], v[144:145]
	v_add_f64 v[134:135], v[142:143], v[140:141]
	v_fma_f64 v[136:137], v[74:75], s[28:29], v[94:95]
	v_mul_f64 v[86:87], v[86:87], s[10:11]
	v_fma_f64 v[74:75], v[74:75], s[42:43], v[94:95]
	v_add_f64 v[4:5], v[72:73], v[4:5]
	v_add_f64 v[70:71], v[20:21], v[70:71]
	;; [unrolled: 1-line block ×4, first 2 shown]
	v_fma_f64 v[138:139], v[78:79], s[42:43], v[126:127]
	v_fma_f64 v[72:73], v[78:79], s[28:29], v[126:127]
	v_mul_f64 v[94:95], v[84:85], s[14:15]
	v_mul_f64 v[126:127], v[84:85], s[12:13]
	v_add_f64 v[80:81], v[96:97], v[80:81]
	v_fma_f64 v[96:97], v[78:79], s[48:49], v[98:99]
	v_add_f64 v[82:83], v[100:101], v[82:83]
	v_fma_f64 v[98:99], v[78:79], s[26:27], v[98:99]
	v_mul_f64 v[142:143], v[84:85], s[18:19]
	v_add_f64 v[108:109], v[112:113], v[108:109]
	v_fma_f64 v[140:141], v[78:79], s[54:55], v[110:111]
	v_fma_f64 v[110:111], v[78:79], s[22:23], v[110:111]
	v_mul_f64 v[112:113], v[84:85], s[10:11]
	v_mul_f64 v[100:101], v[84:85], s[16:17]
	v_add_f64 v[102:103], v[104:105], v[102:103]
	v_mul_f64 v[104:105], v[84:85], s[4:5]
	v_add_f64 v[122:123], v[122:123], v[128:129]
	v_add_f64 v[128:129], v[136:137], v[134:135]
	v_fma_f64 v[134:135], v[78:79], s[46:47], v[86:87]
	v_fma_f64 v[78:79], v[78:79], s[20:21], v[86:87]
	v_mul_f64 v[84:85], v[84:85], s[24:25]
	v_add_f64 v[4:5], v[74:75], v[4:5]
	v_add_f64 v[70:71], v[12:13], v[70:71]
	;; [unrolled: 1-line block ×4, first 2 shown]
	v_fma_f64 v[86:87], v[68:69], s[26:27], v[94:95]
	v_fma_f64 v[130:131], v[68:69], s[54:55], v[126:127]
	v_add_f64 v[80:81], v[96:97], v[80:81]
	v_fma_f64 v[94:95], v[68:69], s[48:49], v[94:95]
	v_add_f64 v[82:83], v[98:99], v[82:83]
	v_fma_f64 v[132:133], v[68:69], s[44:45], v[142:143]
	v_fma_f64 v[126:127], v[68:69], s[22:23], v[126:127]
	v_add_f64 v[76:77], v[120:121], v[76:77]
	v_add_f64 v[108:109], v[110:111], v[108:109]
	v_fma_f64 v[110:111], v[68:69], s[20:21], v[112:113]
	v_fma_f64 v[96:97], v[68:69], s[28:29], v[100:101]
	;; [unrolled: 1-line block ×3, first 2 shown]
	v_add_f64 v[100:101], v[140:141], v[102:103]
	v_fma_f64 v[102:103], v[68:69], s[52:53], v[104:105]
	v_fma_f64 v[104:105], v[68:69], s[36:37], v[104:105]
	;; [unrolled: 1-line block ×3, first 2 shown]
	v_add_f64 v[128:129], v[134:135], v[128:129]
	v_fma_f64 v[134:135], v[68:69], s[30:31], v[142:143]
	v_fma_f64 v[136:137], v[68:69], s[34:35], v[84:85]
	v_add_f64 v[4:5], v[78:79], v[4:5]
	v_add_f64 v[70:71], v[8:9], v[70:71]
	v_fma_f64 v[68:69], v[68:69], s[40:41], v[84:85]
	v_add_f64 v[78:79], v[86:87], v[114:115]
	v_add_f64 v[86:87], v[130:131], v[106:107]
	;; [unrolled: 1-line block ×15, first 2 shown]
	ds_write2_b64 v89, v[106:107], v[82:83] offset0:2 offset1:3
	ds_write2_b64 v89, v[72:73], v[98:99] offset0:4 offset1:5
	;; [unrolled: 1-line block ×7, first 2 shown]
	ds_write2_b64 v89, v[70:71], v[4:5] offset1:1
	ds_write_b64 v89, v[68:69] offset:128
.LBB0_13:
	s_or_b32 exec_lo, exec_lo, s1
	v_add_f64 v[118:119], v[64:65], -v[0:1]
	v_add_f64 v[94:95], v[2:3], v[66:67]
	v_add_f64 v[102:103], v[60:61], -v[8:9]
	v_add_f64 v[60:61], v[10:11], v[62:63]
	;; [unrolled: 2-line block ×7, first 2 shown]
	v_lshl_add_u32 v89, v88, 3, 0
	s_waitcnt lgkmcnt(0)
	s_barrier
	buffer_gl0_inv
	v_add_nc_u32_e32 v120, 0xa00, v89
	v_add_nc_u32_e32 v121, 0x1600, v89
	;; [unrolled: 1-line block ×3, first 2 shown]
	v_mul_f64 v[96:97], v[118:119], s[20:21]
	v_add_nc_u32_e32 v123, 0x2e00, v89
	v_mul_f64 v[98:99], v[102:103], s[22:23]
	ds_read2_b64 v[72:75], v120 offset0:54 offset1:241
	v_mul_f64 v[100:101], v[104:105], s[26:27]
	v_mul_f64 v[48:49], v[106:107], s[28:29]
	;; [unrolled: 1-line block ×4, first 2 shown]
	v_fma_f64 v[0:1], v[94:95], s[10:11], v[96:97]
	v_fma_f64 v[4:5], v[60:61], s[12:13], v[98:99]
	;; [unrolled: 1-line block ×4, first 2 shown]
	v_add_f64 v[0:1], v[6:7], v[0:1]
	v_add_f64 v[0:1], v[4:5], v[0:1]
	v_fma_f64 v[4:5], v[52:53], s[16:17], v[48:49]
	v_add_f64 v[0:1], v[8:9], v[0:1]
	v_add_f64 v[8:9], v[28:29], -v[16:17]
	v_mul_f64 v[16:17], v[40:41], s[36:37]
	v_fma_f64 v[28:29], v[20:21], s[24:25], v[36:37]
	v_add_f64 v[0:1], v[4:5], v[0:1]
	v_mul_f64 v[4:5], v[8:9], s[38:39]
	v_fma_f64 v[68:69], v[12:13], s[4:5], v[16:17]
	v_add_f64 v[64:65], v[64:65], v[0:1]
	v_add_f64 v[0:1], v[18:19], v[30:31]
	;; [unrolled: 1-line block ×3, first 2 shown]
	v_fma_f64 v[64:65], v[0:1], s[6:7], v[4:5]
	v_add_f64 v[28:29], v[68:69], v[28:29]
	ds_read2_b64 v[68:71], v89 offset1:187
	ds_read2_b64 v[76:79], v121 offset0:44 offset1:231
	ds_read2_b64 v[80:83], v122 offset0:34 offset1:221
	;; [unrolled: 1-line block ×3, first 2 shown]
	s_waitcnt lgkmcnt(0)
	s_barrier
	buffer_gl0_inv
	v_add_f64 v[64:65], v[64:65], v[28:29]
	s_and_saveexec_b32 s33, s0
	s_cbranch_execz .LBB0_15
; %bb.14:
	v_add_f64 v[124:125], v[66:67], v[6:7]
	s_mov_b32 s38, 0x5d8e7cdc
	s_mov_b32 s39, 0xbfd71e95
	v_mul_f64 v[110:111], v[94:95], s[10:11]
	v_mul_f64 v[66:67], v[56:57], s[14:15]
	;; [unrolled: 1-line block ×4, first 2 shown]
	s_mov_b32 s40, 0x2a9d6da3
	s_mov_b32 s44, 0xeb564b22
	;; [unrolled: 1-line block ×5, first 2 shown]
	v_mul_f64 v[112:113], v[52:53], s[16:17]
	s_mov_b32 s0, 0x370991
	s_mov_b32 s41, 0xbfe58eea
	s_mov_b32 s17, 0xbfeca52d
	s_mov_b32 s16, 0x7c9e640b
	s_mov_b32 s45, 0xbfefdd0d
	s_mov_b32 s43, 0xbfeec746
	s_mov_b32 s23, 0xbfe9895b
	s_mov_b32 s29, 0xbfc7851a
	s_mov_b32 s1, 0x3fedd6d0
	v_add_f64 v[62:63], v[62:63], v[124:125]
	v_mul_f64 v[114:115], v[24:25], s[18:19]
	v_mul_f64 v[116:117], v[20:21], s[24:25]
	;; [unrolled: 1-line block ×9, first 2 shown]
	v_add_f64 v[96:97], v[110:111], -v[96:97]
	v_add_f64 v[28:29], v[28:29], -v[98:99]
	v_fma_f64 v[98:99], v[94:95], s[0:1], v[126:127]
	s_mov_b32 s10, 0x75d4884
	s_mov_b32 s26, 0xc61f0d01
	;; [unrolled: 1-line block ×9, first 2 shown]
	v_add_f64 v[62:63], v[58:59], v[62:63]
	s_mov_b32 s53, 0x3fe0d888
	s_mov_b32 s49, 0x3feec746
	;; [unrolled: 1-line block ×5, first 2 shown]
	v_mul_f64 v[140:141], v[102:103], s[44:45]
	v_mul_f64 v[142:143], v[102:103], s[22:23]
	;; [unrolled: 1-line block ×6, first 2 shown]
	v_add_f64 v[48:49], v[112:113], -v[48:49]
	v_add_f64 v[32:33], v[114:115], -v[32:33]
	v_add_f64 v[36:37], v[116:117], -v[36:37]
	v_fma_f64 v[110:111], v[94:95], s[10:11], v[128:129]
	v_fma_f64 v[112:113], v[94:95], s[12:13], -v[130:131]
	v_fma_f64 v[114:115], v[94:95], s[12:13], v[130:131]
	v_fma_f64 v[116:117], v[94:95], s[14:15], -v[132:133]
	v_fma_f64 v[130:131], v[94:95], s[26:27], v[134:135]
	v_mul_f64 v[148:149], v[104:105], s[16:17]
	v_add_f64 v[96:97], v[6:7], v[96:97]
	v_add_f64 v[54:55], v[54:55], v[62:63]
	;; [unrolled: 1-line block ×3, first 2 shown]
	s_mov_b32 s24, 0x910ea3b9
	s_mov_b32 s25, 0xbfeb34fa
	;; [unrolled: 1-line block ×8, first 2 shown]
	v_mul_f64 v[150:151], v[104:105], s[22:23]
	v_mul_f64 v[62:63], v[104:105], s[38:39]
	;; [unrolled: 1-line block ×6, first 2 shown]
	v_fma_f64 v[206:207], v[60:61], s[18:19], -v[142:143]
	v_fma_f64 v[142:143], v[60:61], s[18:19], v[142:143]
	v_fma_f64 v[208:209], v[60:61], s[20:21], -v[144:145]
	v_fma_f64 v[144:145], v[60:61], s[20:21], v[144:145]
	;; [unrolled: 2-line block ×3, first 2 shown]
	v_add_f64 v[50:51], v[50:51], v[54:55]
	v_fma_f64 v[242:243], v[60:61], s[26:27], -v[180:181]
	v_fma_f64 v[180:181], v[60:61], s[26:27], v[180:181]
	v_add_f64 v[110:111], v[6:7], v[110:111]
	v_add_f64 v[112:113], v[6:7], v[112:113]
	;; [unrolled: 1-line block ×5, first 2 shown]
	v_mul_f64 v[152:153], v[106:107], s[44:45]
	v_fma_f64 v[212:213], v[56:57], s[12:13], -v[148:149]
	v_add_f64 v[28:29], v[28:29], v[96:97]
	v_fma_f64 v[148:149], v[56:57], s[12:13], v[148:149]
	v_mul_f64 v[154:155], v[106:107], s[28:29]
	v_mul_f64 v[156:157], v[106:107], s[16:17]
	;; [unrolled: 1-line block ×6, first 2 shown]
	v_fma_f64 v[214:215], v[56:57], s[18:19], -v[150:151]
	v_fma_f64 v[150:151], v[56:57], s[18:19], v[150:151]
	v_fma_f64 v[216:217], v[56:57], s[0:1], -v[62:63]
	v_fma_f64 v[62:63], v[56:57], s[0:1], v[62:63]
	v_add_f64 v[46:47], v[46:47], v[50:51]
	v_add_f64 v[50:51], v[66:67], -v[100:101]
	v_fma_f64 v[66:67], v[94:95], s[0:1], -v[126:127]
	v_fma_f64 v[100:101], v[94:95], s[10:11], -v[128:129]
	v_fma_f64 v[126:127], v[94:95], s[14:15], v[132:133]
	v_fma_f64 v[128:129], v[94:95], s[26:27], -v[134:135]
	v_fma_f64 v[132:133], v[94:95], s[18:19], -v[136:137]
	v_fma_f64 v[134:135], v[94:95], s[18:19], v[136:137]
	v_fma_f64 v[136:137], v[94:95], s[20:21], -v[118:119]
	v_fma_f64 v[94:95], v[94:95], s[20:21], v[118:119]
	;; [unrolled: 2-line block ×4, first 2 shown]
	v_mul_f64 v[158:159], v[108:109], s[42:43]
	v_fma_f64 v[218:219], v[52:53], s[14:15], -v[152:153]
	v_fma_f64 v[152:153], v[52:53], s[14:15], v[152:153]
	s_mov_b32 s47, 0x3fefdd0d
	s_mov_b32 s46, s44
	v_mul_f64 v[162:163], v[108:109], s[16:17]
	v_mul_f64 v[166:167], v[108:109], s[22:23]
	v_fma_f64 v[220:221], v[52:53], s[20:21], -v[154:155]
	v_add_f64 v[38:39], v[38:39], v[46:47]
	v_fma_f64 v[46:47], v[60:61], s[14:15], -v[140:141]
	v_add_f64 v[66:67], v[6:7], v[66:67]
	v_fma_f64 v[140:141], v[60:61], s[14:15], v[140:141]
	v_add_f64 v[100:101], v[6:7], v[100:101]
	v_add_f64 v[126:127], v[6:7], v[126:127]
	v_add_f64 v[128:129], v[6:7], v[128:129]
	v_add_f64 v[132:133], v[6:7], v[132:133]
	v_add_f64 v[134:135], v[6:7], v[134:135]
	v_add_f64 v[136:137], v[6:7], v[136:137]
	v_add_f64 v[6:7], v[6:7], v[94:95]
	v_add_f64 v[96:97], v[138:139], v[98:99]
	v_fma_f64 v[94:95], v[56:57], s[10:11], v[186:187]
	v_add_f64 v[28:29], v[50:51], v[28:29]
	v_fma_f64 v[154:155], v[52:53], s[20:21], v[154:155]
	v_fma_f64 v[222:223], v[52:53], s[12:13], -v[156:157]
	v_fma_f64 v[156:157], v[52:53], s[12:13], v[156:157]
	v_mul_f64 v[160:161], v[108:109], s[52:53]
	v_mul_f64 v[164:165], v[108:109], s[28:29]
	;; [unrolled: 1-line block ×4, first 2 shown]
	v_fma_f64 v[224:225], v[24:25], s[26:27], -v[158:159]
	v_add_f64 v[30:31], v[30:31], v[38:39]
	v_mul_f64 v[108:109], v[108:109], s[46:47]
	v_add_f64 v[66:67], v[118:119], v[66:67]
	v_add_f64 v[98:99], v[140:141], v[110:111]
	;; [unrolled: 1-line block ×11, first 2 shown]
	v_fma_f64 v[130:131], v[52:53], s[24:25], -v[192:193]
	v_fma_f64 v[132:133], v[52:53], s[24:25], v[192:193]
	v_fma_f64 v[134:135], v[52:53], s[10:11], -v[106:107]
	v_add_f64 v[28:29], v[48:49], v[28:29]
	v_fma_f64 v[38:39], v[24:25], s[26:27], v[158:159]
	s_mov_b32 s17, 0x3feca52d
	v_mul_f64 v[170:171], v[44:45], s[38:39]
	v_mul_f64 v[172:173], v[44:45], s[40:41]
	;; [unrolled: 1-line block ×3, first 2 shown]
	v_add_f64 v[18:19], v[18:19], v[30:31]
	v_fma_f64 v[30:31], v[60:61], s[0:1], -v[102:103]
	v_fma_f64 v[60:61], v[60:61], s[0:1], v[102:103]
	v_fma_f64 v[102:103], v[56:57], s[20:21], -v[182:183]
	v_fma_f64 v[182:183], v[56:57], s[20:21], v[182:183]
	v_add_f64 v[50:51], v[212:213], v[66:67]
	v_add_f64 v[66:67], v[148:149], v[96:97]
	;; [unrolled: 1-line block ×4, first 2 shown]
	v_mul_f64 v[198:199], v[44:45], s[36:37]
	v_add_f64 v[94:95], v[94:95], v[118:119]
	v_mul_f64 v[200:201], v[44:45], s[46:47]
	v_add_f64 v[62:63], v[62:63], v[128:129]
	v_mul_f64 v[44:45], v[44:45], s[16:17]
	v_fma_f64 v[226:227], v[24:25], s[12:13], -v[162:163]
	v_fma_f64 v[162:163], v[24:25], s[12:13], v[162:163]
	v_fma_f64 v[230:231], v[24:25], s[18:19], -v[166:167]
	v_fma_f64 v[166:167], v[24:25], s[18:19], v[166:167]
	v_mul_f64 v[202:203], v[40:41], s[36:37]
	v_fma_f64 v[158:159], v[24:25], s[24:25], -v[160:161]
	v_fma_f64 v[160:161], v[24:25], s[24:25], v[160:161]
	v_fma_f64 v[228:229], v[24:25], s[20:21], -v[164:165]
	v_add_f64 v[18:19], v[42:43], v[18:19]
	v_fma_f64 v[42:43], v[56:57], s[10:11], -v[186:187]
	v_fma_f64 v[186:187], v[56:57], s[24:25], -v[104:105]
	v_fma_f64 v[56:57], v[56:57], s[24:25], v[104:105]
	v_add_f64 v[6:7], v[60:61], v[6:7]
	v_add_f64 v[30:31], v[30:31], v[136:137]
	v_fma_f64 v[104:105], v[52:53], s[26:27], -v[188:189]
	v_fma_f64 v[188:189], v[52:53], s[26:27], v[188:189]
	v_fma_f64 v[60:61], v[52:53], s[0:1], v[190:191]
	v_add_f64 v[98:99], v[102:103], v[100:101]
	v_add_f64 v[102:103], v[244:245], v[112:113]
	;; [unrolled: 1-line block ×6, first 2 shown]
	v_fma_f64 v[164:165], v[24:25], s[20:21], v[164:165]
	v_fma_f64 v[232:233], v[20:21], s[18:19], -v[168:169]
	v_add_f64 v[46:47], v[220:221], v[46:47]
	v_add_f64 v[66:67], v[154:155], v[96:97]
	;; [unrolled: 1-line block ×4, first 2 shown]
	v_fma_f64 v[168:169], v[20:21], s[18:19], v[168:169]
	v_add_f64 v[18:19], v[34:35], v[18:19]
	v_fma_f64 v[34:35], v[52:53], s[0:1], -v[190:191]
	v_fma_f64 v[52:53], v[52:53], s[10:11], v[106:107]
	v_add_f64 v[106:107], v[184:185], v[114:115]
	v_add_f64 v[6:7], v[56:57], v[6:7]
	;; [unrolled: 1-line block ×4, first 2 shown]
	v_fma_f64 v[56:57], v[24:25], s[10:11], v[194:195]
	v_fma_f64 v[112:113], v[24:25], s[14:15], -v[108:109]
	v_add_f64 v[96:97], v[104:105], v[98:99]
	v_add_f64 v[62:63], v[132:133], v[62:63]
	;; [unrolled: 1-line block ×6, first 2 shown]
	v_mul_f64 v[124:125], v[12:13], s[4:5]
	s_mov_b32 s5, 0x3fe9895b
	s_mov_b32 s4, s22
	v_mul_f64 v[174:175], v[40:41], s[44:45]
	v_mul_f64 v[176:177], v[40:41], s[38:39]
	;; [unrolled: 1-line block ×4, first 2 shown]
	v_add_f64 v[18:19], v[26:27], v[18:19]
	v_add_f64 v[34:35], v[34:35], v[102:103]
	v_fma_f64 v[26:27], v[24:25], s[10:11], -v[194:195]
	v_add_f64 v[60:61], v[60:61], v[106:107]
	v_add_f64 v[6:7], v[52:53], v[6:7]
	;; [unrolled: 1-line block ×3, first 2 shown]
	v_fma_f64 v[24:25], v[24:25], s[14:15], v[108:109]
	v_add_f64 v[30:31], v[134:135], v[30:31]
	v_mul_f64 v[204:205], v[40:41], s[16:17]
	v_mul_f64 v[40:41], v[40:41], s[4:5]
	v_fma_f64 v[234:235], v[20:21], s[0:1], -v[170:171]
	v_fma_f64 v[170:171], v[20:21], s[0:1], v[170:171]
	v_fma_f64 v[236:237], v[20:21], s[10:11], -v[172:173]
	v_fma_f64 v[172:173], v[20:21], s[10:11], v[172:173]
	;; [unrolled: 2-line block ×3, first 2 shown]
	v_fma_f64 v[52:53], v[20:21], s[24:25], v[198:199]
	v_fma_f64 v[102:103], v[20:21], s[14:15], -v[200:201]
	v_fma_f64 v[104:105], v[20:21], s[14:15], v[200:201]
	v_fma_f64 v[106:107], v[20:21], s[12:13], -v[44:45]
	v_add_f64 v[48:49], v[56:57], v[98:99]
	v_add_f64 v[56:57], v[164:165], v[94:95]
	;; [unrolled: 1-line block ×3, first 2 shown]
	v_fma_f64 v[22:23], v[20:21], s[24:25], -v[198:199]
	v_fma_f64 v[20:21], v[20:21], s[12:13], v[44:45]
	v_add_f64 v[34:35], v[226:227], v[34:35]
	v_add_f64 v[50:51], v[162:163], v[60:61]
	;; [unrolled: 1-line block ×11, first 2 shown]
	v_fma_f64 v[62:63], v[12:13], s[24:25], v[202:203]
	v_add_f64 v[28:29], v[36:37], v[28:29]
	v_add_f64 v[36:37], v[168:169], v[38:39]
	v_fma_f64 v[238:239], v[12:13], s[14:15], -v[174:175]
	v_fma_f64 v[174:175], v[12:13], s[14:15], v[174:175]
	v_fma_f64 v[240:241], v[12:13], s[0:1], -v[176:177]
	v_fma_f64 v[176:177], v[12:13], s[0:1], v[176:177]
	v_fma_f64 v[66:67], v[12:13], s[12:13], -v[204:205]
	v_add_f64 v[14:15], v[14:15], v[18:19]
	v_fma_f64 v[18:19], v[12:13], s[24:25], -v[202:203]
	v_fma_f64 v[94:95], v[12:13], s[12:13], v[204:205]
	v_fma_f64 v[96:97], v[12:13], s[18:19], -v[40:41]
	v_fma_f64 v[40:41], v[12:13], s[18:19], v[40:41]
	v_add_f64 v[22:23], v[22:23], v[34:35]
	v_add_f64 v[34:35], v[52:53], v[50:51]
	v_add_f64 v[6:7], v[20:21], v[6:7]
	v_fma_f64 v[20:21], v[12:13], s[20:21], v[178:179]
	v_fma_f64 v[52:53], v[12:13], s[26:27], -v[54:55]
	v_add_f64 v[38:39], v[108:109], v[44:45]
	v_add_f64 v[44:45], v[114:115], v[46:47]
	;; [unrolled: 1-line block ×6, first 2 shown]
	v_add_f64 v[16:17], v[124:125], -v[16:17]
	v_mul_f64 v[56:57], v[8:9], s[30:31]
	v_add_f64 v[50:51], v[236:237], v[60:61]
	v_add_f64 v[24:25], v[172:173], v[24:25]
	;; [unrolled: 1-line block ×3, first 2 shown]
	v_mul_f64 v[60:61], v[8:9], s[34:35]
	v_add_f64 v[10:11], v[10:11], v[14:15]
	v_fma_f64 v[14:15], v[12:13], s[20:21], -v[178:179]
	v_fma_f64 v[12:13], v[12:13], s[26:27], v[54:55]
	v_mul_f64 v[54:55], v[8:9], s[28:29]
	v_add_f64 v[18:19], v[18:19], v[32:33]
	v_mul_f64 v[32:33], v[8:9], s[36:37]
	v_add_f64 v[36:37], v[62:63], v[36:37]
	v_mul_f64 v[62:63], v[8:9], s[22:23]
	v_mul_f64 v[58:59], v[0:1], s[6:7]
	v_mul_f64 v[98:99], v[8:9], s[16:17]
	v_mul_f64 v[8:9], v[8:9], s[46:47]
	v_add_f64 v[38:39], v[66:67], v[38:39]
	v_add_f64 v[26:27], v[238:239], v[26:27]
	;; [unrolled: 1-line block ×6, first 2 shown]
	v_fma_f64 v[28:29], v[0:1], s[0:1], -v[56:57]
	v_add_f64 v[44:45], v[94:95], v[44:45]
	v_add_f64 v[22:23], v[96:97], v[22:23]
	v_add_f64 v[20:21], v[20:21], v[24:25]
	v_add_f64 v[24:25], v[52:53], v[30:31]
	v_fma_f64 v[30:31], v[0:1], s[0:1], v[56:57]
	v_add_f64 v[14:15], v[14:15], v[50:51]
	v_add_f64 v[6:7], v[12:13], v[6:7]
	v_fma_f64 v[12:13], v[0:1], s[20:21], -v[54:55]
	v_fma_f64 v[50:51], v[0:1], s[10:11], -v[60:61]
	v_fma_f64 v[48:49], v[0:1], s[24:25], -v[32:33]
	v_fma_f64 v[52:53], v[0:1], s[10:11], v[60:61]
	v_fma_f64 v[56:57], v[0:1], s[18:19], -v[62:63]
	v_add_f64 v[4:5], v[58:59], -v[4:5]
	v_fma_f64 v[60:61], v[0:1], s[12:13], -v[98:99]
	v_fma_f64 v[58:59], v[0:1], s[14:15], -v[8:9]
	v_fma_f64 v[8:9], v[0:1], s[14:15], v[8:9]
	v_fma_f64 v[66:67], v[0:1], s[12:13], v[98:99]
	;; [unrolled: 1-line block ×3, first 2 shown]
	v_add_f64 v[46:47], v[174:175], v[46:47]
	v_fma_f64 v[32:33], v[0:1], s[24:25], v[32:33]
	v_fma_f64 v[0:1], v[0:1], s[20:21], v[54:55]
	v_add_f64 v[2:3], v[2:3], v[10:11]
	v_add_f64 v[10:11], v[12:13], v[18:19]
	;; [unrolled: 1-line block ×16, first 2 shown]
	v_lshl_add_u32 v32, v88, 7, v89
	ds_write2_b64 v32, v[2:3], v[10:11] offset1:1
	ds_write2_b64 v32, v[12:13], v[26:27] offset0:2 offset1:3
	ds_write2_b64 v32, v[22:23], v[30:31] offset0:4 offset1:5
	;; [unrolled: 1-line block ×7, first 2 shown]
	ds_write_b64 v32, v[0:1] offset:128
.LBB0_15:
	s_or_b32 exec_lo, exec_lo, s33
	v_and_b32_e32 v0, 0xff, v88
	v_mov_b32_e32 v1, 9
	s_waitcnt lgkmcnt(0)
	s_barrier
	buffer_gl0_inv
	v_mul_lo_u16 v0, 0xf1, v0
	s_mov_b32 s12, 0x134454ff
	s_mov_b32 s13, 0xbfee6f0e
	;; [unrolled: 1-line block ×4, first 2 shown]
	v_lshrrev_b16 v102, 12, v0
	s_mov_b32 s6, 0x4755a5e
	s_mov_b32 s7, 0xbfe2cf23
	;; [unrolled: 1-line block ×4, first 2 shown]
	v_mul_lo_u16 v0, v102, 17
	s_mov_b32 s14, 0x372fe950
	s_mov_b32 s15, 0x3fd3c6ef
	;; [unrolled: 1-line block ×4, first 2 shown]
	v_sub_nc_u16 v103, v88, v0
	s_mov_b32 s1, 0xbfd3c6ef
	s_mov_b32 s19, 0xbfe9e377
	;; [unrolled: 1-line block ×4, first 2 shown]
	v_mul_u32_u24_sdwa v0, v103, v1 dst_sel:DWORD dst_unused:UNUSED_PAD src0_sel:BYTE_0 src1_sel:DWORD
	v_lshlrev_b32_e32 v4, 4, v0
	s_clause 0x8
	global_load_dwordx4 v[0:3], v4, s[8:9] offset:32
	global_load_dwordx4 v[8:11], v4, s[8:9] offset:64
	;; [unrolled: 1-line block ×4, first 2 shown]
	global_load_dwordx4 v[20:23], v4, s[8:9]
	global_load_dwordx4 v[32:35], v4, s[8:9] offset:16
	global_load_dwordx4 v[42:45], v4, s[8:9] offset:48
	;; [unrolled: 1-line block ×4, first 2 shown]
	ds_read2_b64 v[56:59], v120 offset0:54 offset1:241
	ds_read2_b64 v[60:63], v121 offset0:44 offset1:231
	;; [unrolled: 1-line block ×4, first 2 shown]
	ds_read2_b64 v[4:7], v89 offset1:187
	s_waitcnt vmcnt(0) lgkmcnt(0)
	s_barrier
	buffer_gl0_inv
	v_mul_f64 v[24:25], v[74:75], v[2:3]
	v_mul_f64 v[26:27], v[78:79], v[10:11]
	;; [unrolled: 1-line block ×11, first 2 shown]
	v_fma_f64 v[30:31], v[58:59], v[0:1], -v[24:25]
	v_fma_f64 v[28:29], v[62:63], v[8:9], -v[26:27]
	;; [unrolled: 1-line block ×4, first 2 shown]
	v_mul_f64 v[36:37], v[56:57], v[34:35]
	v_mul_f64 v[38:39], v[60:61], v[44:45]
	;; [unrolled: 1-line block ×3, first 2 shown]
	v_fma_f64 v[0:1], v[74:75], v[0:1], v[2:3]
	v_fma_f64 v[2:3], v[78:79], v[8:9], v[10:11]
	;; [unrolled: 1-line block ×4, first 2 shown]
	v_fma_f64 v[6:7], v[6:7], v[20:21], -v[40:41]
	v_mul_f64 v[16:17], v[72:73], v[34:35]
	v_mul_f64 v[18:19], v[76:77], v[44:45]
	;; [unrolled: 1-line block ×4, first 2 shown]
	v_fma_f64 v[20:21], v[70:71], v[20:21], v[22:23]
	v_add_f64 v[12:13], v[28:29], v[26:27]
	v_add_f64 v[14:15], v[30:31], v[24:25]
	v_fma_f64 v[44:45], v[72:73], v[32:33], v[36:37]
	v_fma_f64 v[36:37], v[76:77], v[42:43], v[38:39]
	;; [unrolled: 1-line block ×4, first 2 shown]
	v_add_f64 v[66:67], v[26:27], -v[24:25]
	v_add_f64 v[22:23], v[2:3], v[8:9]
	v_add_f64 v[54:55], v[0:1], v[10:11]
	v_add_f64 v[58:59], v[0:1], -v[10:11]
	v_add_f64 v[62:63], v[2:3], -v[8:9]
	v_fma_f64 v[40:41], v[56:57], v[32:33], -v[16:17]
	v_fma_f64 v[42:43], v[60:61], v[42:43], -v[18:19]
	;; [unrolled: 1-line block ×4, first 2 shown]
	v_add_f64 v[48:49], v[30:31], -v[24:25]
	v_add_f64 v[50:51], v[28:29], -v[26:27]
	;; [unrolled: 1-line block ×7, first 2 shown]
	v_fma_f64 v[12:13], v[12:13], -0.5, v[6:7]
	v_fma_f64 v[14:15], v[14:15], -0.5, v[6:7]
	v_add_f64 v[74:75], v[68:69], v[44:45]
	v_add_f64 v[84:85], v[8:9], -v[10:11]
	v_add_f64 v[16:17], v[36:37], v[38:39]
	v_add_f64 v[18:19], v[44:45], v[46:47]
	v_add_f64 v[86:87], v[46:47], -v[38:39]
	v_fma_f64 v[22:23], v[22:23], -0.5, v[20:21]
	v_fma_f64 v[54:55], v[54:55], -0.5, v[20:21]
	v_add_f64 v[20:21], v[20:21], v[0:1]
	v_add_f64 v[0:1], v[2:3], -v[0:1]
	v_add_f64 v[94:95], v[36:37], -v[44:45]
	;; [unrolled: 1-line block ×5, first 2 shown]
	v_add_f64 v[52:53], v[52:53], v[56:57]
	v_add_f64 v[56:57], v[60:61], v[66:67]
	v_fma_f64 v[70:71], v[58:59], s[4:5], v[12:13]
	v_fma_f64 v[72:73], v[62:63], s[12:13], v[14:15]
	v_fma_f64 v[14:15], v[62:63], s[4:5], v[14:15]
	v_fma_f64 v[12:13], v[58:59], s[12:13], v[12:13]
	v_fma_f64 v[16:17], v[16:17], -0.5, v[68:69]
	v_fma_f64 v[18:19], v[18:19], -0.5, v[68:69]
	v_add_f64 v[74:75], v[74:75], v[36:37]
	v_fma_f64 v[60:61], v[48:49], s[12:13], v[22:23]
	v_fma_f64 v[22:23], v[48:49], s[4:5], v[22:23]
	;; [unrolled: 1-line block ×4, first 2 shown]
	v_add_f64 v[2:3], v[20:21], v[2:3]
	v_add_f64 v[20:21], v[80:81], v[82:83]
	;; [unrolled: 1-line block ×3, first 2 shown]
	v_fma_f64 v[68:69], v[62:63], s[10:11], v[70:71]
	v_fma_f64 v[70:71], v[58:59], s[10:11], v[72:73]
	;; [unrolled: 1-line block ×4, first 2 shown]
	v_add_f64 v[72:73], v[44:45], -v[36:37]
	v_fma_f64 v[80:81], v[76:77], s[12:13], v[16:17]
	v_fma_f64 v[16:17], v[76:77], s[4:5], v[16:17]
	;; [unrolled: 1-line block ×8, first 2 shown]
	v_add_f64 v[2:3], v[2:3], v[8:9]
	v_fma_f64 v[62:63], v[52:53], s[14:15], v[68:69]
	v_fma_f64 v[60:61], v[56:57], s[14:15], v[70:71]
	;; [unrolled: 1-line block ×4, first 2 shown]
	v_add_f64 v[12:13], v[72:73], v[86:87]
	v_add_f64 v[14:15], v[94:95], v[96:97]
	;; [unrolled: 1-line block ×3, first 2 shown]
	v_fma_f64 v[8:9], v[78:79], s[6:7], v[80:81]
	v_fma_f64 v[16:17], v[78:79], s[10:11], v[16:17]
	;; [unrolled: 1-line block ×8, first 2 shown]
	v_add_f64 v[2:3], v[2:3], v[10:11]
	v_mul_f64 v[0:1], v[62:63], s[6:7]
	v_mul_f64 v[20:21], v[60:61], s[12:13]
	;; [unrolled: 1-line block ×4, first 2 shown]
	v_add_f64 v[68:69], v[68:69], v[46:47]
	v_fma_f64 v[72:73], v[12:13], s[14:15], v[8:9]
	v_fma_f64 v[74:75], v[12:13], s[14:15], v[16:17]
	;; [unrolled: 1-line block ×8, first 2 shown]
	v_cmp_gt_u32_e64 s0, 0xaa, v88
	v_add_f64 v[0:1], v[68:69], v[2:3]
	v_add_f64 v[14:15], v[68:69], -v[2:3]
	v_add_f64 v[2:3], v[72:73], v[70:71]
	v_add_f64 v[8:9], v[16:17], v[76:77]
	;; [unrolled: 1-line block ×4, first 2 shown]
	v_add_f64 v[20:21], v[72:73], -v[70:71]
	v_add_f64 v[22:23], v[16:17], -v[76:77]
	;; [unrolled: 1-line block ×4, first 2 shown]
	v_mov_b32_e32 v66, 0x550
	v_mov_b32_e32 v67, 3
	v_mul_u32_u24_sdwa v66, v102, v66 dst_sel:DWORD dst_unused:UNUSED_PAD src0_sel:WORD_0 src1_sel:DWORD
	v_lshlrev_b32_sdwa v67, v67, v103 dst_sel:DWORD dst_unused:UNUSED_PAD src0_sel:DWORD src1_sel:BYTE_0
	v_add3_u32 v66, 0, v66, v67
	ds_write2_b64 v66, v[0:1], v[2:3] offset1:17
	ds_write2_b64 v66, v[8:9], v[10:11] offset0:34 offset1:51
	ds_write2_b64 v66, v[12:13], v[14:15] offset0:68 offset1:85
	;; [unrolled: 1-line block ×4, first 2 shown]
	s_waitcnt lgkmcnt(0)
	s_barrier
	buffer_gl0_inv
	s_and_saveexec_b32 s1, s0
	s_cbranch_execz .LBB0_17
; %bb.16:
	v_add_nc_u32_e32 v8, 0x800, v89
	v_add_nc_u32_e32 v12, 0x1400, v89
	;; [unrolled: 1-line block ×4, first 2 shown]
	ds_read2_b64 v[0:3], v89 offset1:170
	ds_read2_b64 v[8:11], v8 offset0:84 offset1:254
	ds_read2_b64 v[12:15], v12 offset0:40 offset1:210
	ds_read2_b64 v[20:23], v16 offset0:60 offset1:230
	ds_read2_b64 v[16:19], v17 offset0:80 offset1:250
	ds_read_b64 v[92:93], v89 offset:13600
.LBB0_17:
	s_or_b32 exec_lo, exec_lo, s1
	v_add_f64 v[67:68], v[42:43], v[34:35]
	v_add_f64 v[69:70], v[40:41], v[32:33]
	;; [unrolled: 1-line block ×3, first 2 shown]
	v_add_f64 v[44:45], v[44:45], -v[46:47]
	v_add_f64 v[6:7], v[6:7], v[30:31]
	v_add_f64 v[30:31], v[36:37], -v[38:39]
	v_add_f64 v[38:39], v[40:41], -v[42:43]
	;; [unrolled: 1-line block ×4, first 2 shown]
	v_mul_f64 v[62:63], v[62:63], s[16:17]
	v_mul_f64 v[60:61], v[60:61], s[14:15]
	;; [unrolled: 1-line block ×4, first 2 shown]
	s_waitcnt lgkmcnt(0)
	s_barrier
	buffer_gl0_inv
	v_fma_f64 v[36:37], v[67:68], -0.5, v[4:5]
	v_fma_f64 v[4:5], v[69:70], -0.5, v[4:5]
	v_add_f64 v[42:43], v[71:72], v[42:43]
	v_add_f64 v[6:7], v[6:7], v[28:29]
	v_add_f64 v[28:29], v[34:35], -v[32:33]
	v_add_f64 v[38:39], v[38:39], v[46:47]
	v_fma_f64 v[46:47], v[48:49], s[10:11], -v[52:53]
	v_fma_f64 v[67:68], v[44:45], s[4:5], v[36:37]
	v_fma_f64 v[69:70], v[30:31], s[12:13], v[4:5]
	;; [unrolled: 1-line block ×4, first 2 shown]
	v_add_f64 v[34:35], v[42:43], v[34:35]
	v_add_f64 v[6:7], v[6:7], v[26:27]
	;; [unrolled: 1-line block ×3, first 2 shown]
	v_fma_f64 v[42:43], v[54:55], s[4:5], v[60:61]
	v_fma_f64 v[28:29], v[30:31], s[10:11], v[67:68]
	;; [unrolled: 1-line block ×6, first 2 shown]
	v_fma_f64 v[44:45], v[56:57], s[4:5], -v[58:59]
	v_add_f64 v[32:33], v[34:35], v[32:33]
	v_add_f64 v[6:7], v[6:7], v[24:25]
	v_fma_f64 v[28:29], v[38:39], s[14:15], v[28:29]
	v_fma_f64 v[40:41], v[26:27], s[14:15], v[40:41]
	;; [unrolled: 1-line block ×4, first 2 shown]
	v_add_f64 v[4:5], v[32:33], v[6:7]
	v_add_f64 v[34:35], v[32:33], -v[6:7]
	v_add_f64 v[6:7], v[28:29], v[36:37]
	v_add_f64 v[24:25], v[40:41], v[42:43]
	;; [unrolled: 1-line block ×4, first 2 shown]
	v_add_f64 v[36:37], v[28:29], -v[36:37]
	v_add_f64 v[38:39], v[40:41], -v[42:43]
	;; [unrolled: 1-line block ×4, first 2 shown]
	ds_write2_b64 v66, v[4:5], v[6:7] offset1:17
	ds_write2_b64 v66, v[24:25], v[26:27] offset0:34 offset1:51
	ds_write2_b64 v66, v[32:33], v[34:35] offset0:68 offset1:85
	;; [unrolled: 1-line block ×4, first 2 shown]
	s_waitcnt lgkmcnt(0)
	s_barrier
	buffer_gl0_inv
	s_and_saveexec_b32 s1, s0
	s_cbranch_execnz .LBB0_20
; %bb.18:
	s_or_b32 exec_lo, exec_lo, s1
	s_and_b32 s0, vcc_lo, s0
	s_and_saveexec_b32 s1, s0
	s_cbranch_execnz .LBB0_21
.LBB0_19:
	s_endpgm
.LBB0_20:
	v_add_nc_u32_e32 v24, 0x800, v89
	v_add_nc_u32_e32 v28, 0x1400, v89
	;; [unrolled: 1-line block ×4, first 2 shown]
	ds_read2_b64 v[4:7], v89 offset1:170
	ds_read2_b64 v[24:27], v24 offset0:84 offset1:254
	ds_read2_b64 v[32:35], v28 offset0:40 offset1:210
	;; [unrolled: 1-line block ×4, first 2 shown]
	ds_read_b64 v[64:65], v89 offset:13600
	s_or_b32 exec_lo, exec_lo, s1
	s_and_b32 s0, vcc_lo, s0
	s_and_saveexec_b32 s1, s0
	s_cbranch_execz .LBB0_19
.LBB0_21:
	v_mul_u32_u24_e32 v40, 10, v88
	v_mov_b32_e32 v89, 0
	s_mov_b32 s14, 0x43842ef
	s_mov_b32 s16, 0xbb3a28a1
	s_mov_b32 s18, 0xf8bb580b
	v_lshlrev_b32_e32 v40, 4, v40
	v_lshlrev_b64 v[82:83], 4, v[88:89]
	s_mov_b32 s20, 0xfd768dbf
	s_mov_b32 s15, 0xbfefac9e
	;; [unrolled: 1-line block ×3, first 2 shown]
	v_add_co_u32 v68, s0, s8, v40
	v_add_co_ci_u32_e64 v69, null, s9, 0, s0
	s_mov_b32 s12, 0x8eee2c13
	v_add_co_u32 v40, vcc_lo, 0x9d0, v68
	v_add_co_ci_u32_e32 v41, vcc_lo, 0, v69, vcc_lo
	v_add_co_u32 v74, vcc_lo, 0x800, v68
	v_add_co_ci_u32_e32 v75, vcc_lo, 0, v69, vcc_lo
	;; [unrolled: 2-line block ×4, first 2 shown]
	s_clause 0x9
	global_load_dwordx4 v[44:47], v[74:75], off offset:464
	global_load_dwordx4 v[48:51], v[40:41], off offset:16
	;; [unrolled: 1-line block ×10, first 2 shown]
	v_add_co_u32 v84, vcc_lo, s2, v90
	v_add_co_ci_u32_e32 v85, vcc_lo, s3, v91, vcc_lo
	s_mov_b32 s17, 0xbfe82f19
	s_mov_b32 s19, 0x3fe14ced
	;; [unrolled: 1-line block ×19, first 2 shown]
	v_add_co_u32 v82, vcc_lo, v84, v82
	v_add_co_ci_u32_e32 v83, vcc_lo, v85, v83, vcc_lo
	v_add_co_u32 v84, vcc_lo, 0x800, v82
	v_add_co_ci_u32_e32 v85, vcc_lo, 0, v83, vcc_lo
	;; [unrolled: 2-line block ×4, first 2 shown]
	s_waitcnt vmcnt(9) lgkmcnt(3)
	v_mul_f64 v[88:89], v[34:35], v[46:47]
	v_mul_f64 v[46:47], v[14:15], v[46:47]
	s_waitcnt vmcnt(7)
	v_mul_f64 v[94:95], v[32:33], v[58:59]
	v_mul_f64 v[58:59], v[12:13], v[58:59]
	s_waitcnt vmcnt(5) lgkmcnt(1)
	v_mul_f64 v[100:101], v[28:29], v[42:43]
	v_mul_f64 v[42:43], v[16:17], v[42:43]
	s_waitcnt vmcnt(1)
	v_mul_f64 v[106:107], v[6:7], v[76:77]
	s_waitcnt vmcnt(0) lgkmcnt(0)
	v_mul_f64 v[108:109], v[64:65], v[80:81]
	v_mul_f64 v[76:77], v[2:3], v[76:77]
	;; [unrolled: 1-line block ×13, first 2 shown]
	v_fma_f64 v[14:15], v[14:15], v[44:45], v[88:89]
	v_fma_f64 v[34:35], v[34:35], v[44:45], -v[46:47]
	v_fma_f64 v[12:13], v[12:13], v[56:57], v[94:95]
	v_fma_f64 v[32:33], v[32:33], v[56:57], -v[58:59]
	;; [unrolled: 2-line block ×3, first 2 shown]
	v_fma_f64 v[2:3], v[2:3], v[74:75], v[106:107]
	v_fma_f64 v[44:45], v[92:93], v[78:79], v[108:109]
	v_fma_f64 v[6:7], v[6:7], v[74:75], -v[76:77]
	v_fma_f64 v[40:41], v[64:65], v[78:79], -v[80:81]
	v_fma_f64 v[8:9], v[8:9], v[66:67], v[102:103]
	v_fma_f64 v[24:25], v[24:25], v[66:67], -v[68:69]
	v_fma_f64 v[20:21], v[20:21], v[48:49], v[90:91]
	;; [unrolled: 2-line block ×3, first 2 shown]
	v_fma_f64 v[10:11], v[10:11], v[60:61], v[98:99]
	v_fma_f64 v[26:27], v[26:27], v[60:61], -v[62:63]
	v_fma_f64 v[38:39], v[38:39], v[52:53], -v[54:55]
	v_fma_f64 v[18:19], v[18:19], v[70:71], v[104:105]
	v_fma_f64 v[30:31], v[30:31], v[70:71], -v[72:73]
	v_add_co_u32 v46, vcc_lo, 0x2800, v82
	v_add_co_ci_u32_e32 v47, vcc_lo, 0, v83, vcc_lo
	v_add_co_u32 v48, vcc_lo, 0x3000, v82
	v_add_co_ci_u32_e32 v49, vcc_lo, 0, v83, vcc_lo
	v_add_co_u32 v50, vcc_lo, 0x3800, v82
	v_add_f64 v[58:59], v[2:3], -v[44:45]
	v_add_f64 v[68:69], v[6:7], -v[40:41]
	v_add_f64 v[78:79], v[6:7], v[40:41]
	v_add_f64 v[94:95], v[2:3], v[44:45]
	;; [unrolled: 1-line block ×4, first 2 shown]
	v_add_f64 v[42:43], v[14:15], -v[20:21]
	v_add_f64 v[52:53], v[12:13], -v[22:23]
	v_add_f64 v[54:55], v[10:11], -v[16:17]
	v_add_f64 v[60:61], v[34:35], -v[36:37]
	v_add_f64 v[64:65], v[26:27], -v[28:29]
	v_add_f64 v[62:63], v[32:33], -v[38:39]
	v_add_f64 v[56:57], v[8:9], -v[18:19]
	v_add_f64 v[66:67], v[24:25], -v[30:31]
	v_add_f64 v[70:71], v[34:35], v[36:37]
	v_add_f64 v[72:73], v[32:33], v[38:39]
	;; [unrolled: 1-line block ×8, first 2 shown]
	v_mul_f64 v[104:105], v[58:59], s[20:21]
	v_mul_f64 v[116:117], v[68:69], s[20:21]
	;; [unrolled: 1-line block ×4, first 2 shown]
	v_add_f64 v[6:7], v[24:25], v[6:7]
	v_add_f64 v[2:3], v[8:9], v[2:3]
	v_mul_f64 v[96:97], v[42:43], s[14:15]
	v_mul_f64 v[98:99], v[52:53], s[12:13]
	;; [unrolled: 1-line block ×20, first 2 shown]
	v_add_f64 v[6:7], v[26:27], v[6:7]
	v_add_f64 v[2:3], v[10:11], v[2:3]
	v_mul_f64 v[42:43], v[42:43], s[20:21]
	v_mul_f64 v[52:53], v[52:53], s[16:17]
	;; [unrolled: 1-line block ×10, first 2 shown]
	s_mov_b32 s13, 0xbfed1bb4
	v_mul_f64 v[130:131], v[62:63], s[20:21]
	v_mul_f64 v[150:151], v[62:63], s[22:23]
	;; [unrolled: 1-line block ×9, first 2 shown]
	v_add_f64 v[6:7], v[32:33], v[6:7]
	v_add_f64 v[2:3], v[12:13], v[2:3]
	v_mul_f64 v[134:135], v[66:67], s[24:25]
	v_mul_f64 v[144:145], v[56:57], s[26:27]
	;; [unrolled: 1-line block ×7, first 2 shown]
	v_fma_f64 v[66:67], v[70:71], s[4:5], v[96:97]
	v_fma_f64 v[68:69], v[72:73], s[0:1], v[98:99]
	;; [unrolled: 1-line block ×4, first 2 shown]
	v_fma_f64 v[184:185], v[80:81], s[4:5], -v[106:107]
	v_fma_f64 v[188:189], v[90:91], s[6:7], -v[112:113]
	;; [unrolled: 1-line block ×7, first 2 shown]
	v_fma_f64 v[106:107], v[80:81], s[4:5], v[106:107]
	v_fma_f64 v[112:113], v[90:91], s[6:7], v[112:113]
	;; [unrolled: 1-line block ×7, first 2 shown]
	v_fma_f64 v[204:205], v[80:81], s[0:1], -v[128:129]
	v_fma_f64 v[208:209], v[90:91], s[8:9], -v[132:133]
	;; [unrolled: 1-line block ×6, first 2 shown]
	v_fma_f64 v[128:129], v[80:81], s[0:1], v[128:129]
	v_fma_f64 v[132:133], v[90:91], s[8:9], v[132:133]
	;; [unrolled: 1-line block ×5, first 2 shown]
	v_fma_f64 v[224:225], v[80:81], s[6:7], -v[148:149]
	v_fma_f64 v[228:229], v[90:91], s[0:1], -v[152:153]
	v_fma_f64 v[138:139], v[70:71], s[6:7], -v[138:139]
	v_fma_f64 v[140:141], v[72:73], s[8:9], -v[140:141]
	v_fma_f64 v[142:143], v[74:75], s[0:1], -v[142:143]
	v_fma_f64 v[148:149], v[80:81], s[6:7], v[148:149]
	v_fma_f64 v[152:153], v[90:91], s[0:1], v[152:153]
	;; [unrolled: 1-line block ×5, first 2 shown]
	v_fma_f64 v[240:241], v[80:81], s[8:9], -v[166:167]
	v_fma_f64 v[242:243], v[90:91], s[10:11], -v[170:171]
	v_fma_f64 v[158:159], v[70:71], s[8:9], -v[158:159]
	v_fma_f64 v[160:161], v[72:73], s[4:5], -v[160:161]
	v_fma_f64 v[162:163], v[74:75], s[10:11], -v[162:163]
	v_fma_f64 v[166:167], v[80:81], s[8:9], v[166:167]
	v_fma_f64 v[170:171], v[90:91], s[10:11], v[170:171]
	;; [unrolled: 1-line block ×3, first 2 shown]
	v_fma_f64 v[42:43], v[70:71], s[10:11], -v[42:43]
	v_fma_f64 v[70:71], v[72:73], s[6:7], v[52:53]
	v_fma_f64 v[52:53], v[72:73], s[6:7], -v[52:53]
	v_fma_f64 v[72:73], v[74:75], s[4:5], v[54:55]
	;; [unrolled: 2-line block ×4, first 2 shown]
	v_fma_f64 v[80:81], v[90:91], s[4:5], -v[64:65]
	v_fma_f64 v[174:175], v[78:79], s[8:9], -v[174:175]
	v_fma_f64 v[64:65], v[90:91], s[4:5], v[64:65]
	v_fma_f64 v[90:91], v[94:95], s[8:9], v[176:177]
	v_fma_f64 v[126:127], v[78:79], s[6:7], -v[126:127]
	v_fma_f64 v[222:223], v[78:79], s[4:5], v[146:147]
	v_fma_f64 v[232:233], v[94:95], s[4:5], -v[156:157]
	v_fma_f64 v[146:147], v[78:79], s[4:5], -v[146:147]
	v_fma_f64 v[156:157], v[94:95], s[4:5], v[156:157]
	v_fma_f64 v[136:137], v[94:95], s[6:7], v[136:137]
	v_fma_f64 v[186:187], v[88:89], s[0:1], -v[108:109]
	v_fma_f64 v[108:109], v[88:89], s[0:1], v[108:109]
	v_fma_f64 v[206:207], v[88:89], s[10:11], -v[130:131]
	v_fma_f64 v[130:131], v[88:89], s[10:11], v[130:131]
	v_fma_f64 v[226:227], v[88:89], s[8:9], -v[150:151]
	v_fma_f64 v[150:151], v[88:89], s[8:9], v[150:151]
	v_fma_f64 v[10:11], v[88:89], s[4:5], -v[168:169]
	v_fma_f64 v[168:169], v[88:89], s[4:5], v[168:169]
	v_fma_f64 v[12:13], v[88:89], s[6:7], -v[62:63]
	v_fma_f64 v[62:63], v[88:89], s[6:7], v[62:63]
	v_fma_f64 v[88:89], v[94:95], s[8:9], -v[176:177]
	v_fma_f64 v[176:177], v[78:79], s[0:1], v[8:9]
	v_fma_f64 v[8:9], v[78:79], s[0:1], -v[8:9]
	v_fma_f64 v[78:79], v[94:95], s[0:1], -v[24:25]
	v_fma_f64 v[24:25], v[94:95], s[0:1], v[24:25]
	v_add_f64 v[6:7], v[34:35], v[6:7]
	v_add_f64 v[2:3], v[14:15], v[2:3]
	v_fma_f64 v[180:181], v[76:77], s[8:9], v[102:103]
	v_fma_f64 v[190:191], v[92:93], s[8:9], -v[114:115]
	v_fma_f64 v[102:103], v[76:77], s[8:9], -v[102:103]
	v_fma_f64 v[114:115], v[92:93], s[8:9], v[114:115]
	v_fma_f64 v[200:201], v[76:77], s[4:5], v[124:125]
	v_fma_f64 v[210:211], v[92:93], s[4:5], -v[134:135]
	v_fma_f64 v[124:125], v[76:77], s[4:5], -v[124:125]
	v_fma_f64 v[220:221], v[76:77], s[10:11], v[144:145]
	v_fma_f64 v[144:145], v[76:77], s[10:11], -v[144:145]
	v_fma_f64 v[26:27], v[76:77], s[6:7], v[164:165]
	;; [unrolled: 2-line block ×3, first 2 shown]
	v_fma_f64 v[56:57], v[76:77], s[0:1], -v[56:57]
	v_fma_f64 v[76:77], v[92:93], s[0:1], -v[58:59]
	v_fma_f64 v[58:59], v[92:93], s[0:1], v[58:59]
	v_add_f64 v[14:15], v[4:5], v[182:183]
	v_add_f64 v[34:35], v[0:1], v[192:193]
	;; [unrolled: 1-line block ×8, first 2 shown]
	v_fma_f64 v[230:231], v[92:93], s[10:11], -v[154:155]
	v_fma_f64 v[154:155], v[92:93], s[10:11], v[154:155]
	v_add_f64 v[126:127], v[4:5], v[126:127]
	v_add_f64 v[146:147], v[4:5], v[146:147]
	;; [unrolled: 1-line block ×3, first 2 shown]
	v_fma_f64 v[134:135], v[92:93], s[4:5], v[134:135]
	v_add_f64 v[136:137], v[0:1], v[136:137]
	v_add_f64 v[202:203], v[4:5], v[222:223]
	;; [unrolled: 1-line block ×3, first 2 shown]
	v_fma_f64 v[244:245], v[92:93], s[6:7], -v[172:173]
	v_fma_f64 v[172:173], v[92:93], s[6:7], v[172:173]
	v_add_f64 v[74:75], v[4:5], v[74:75]
	v_add_f64 v[88:89], v[0:1], v[88:89]
	;; [unrolled: 1-line block ×88, first 2 shown]
	v_add_co_ci_u32_e32 v51, vcc_lo, 0, v83, vcc_lo
	v_add_f64 v[28:29], v[32:33], v[62:63]
	v_add_f64 v[34:35], v[234:235], v[64:65]
	;; [unrolled: 1-line block ×8, first 2 shown]
	v_add_co_u32 v92, vcc_lo, 0x4800, v82
	v_add_co_ci_u32_e32 v93, vcc_lo, 0, v83, vcc_lo
	v_add_co_u32 v44, vcc_lo, 0x5000, v82
	v_add_co_ci_u32_e32 v45, vcc_lo, 0, v83, vcc_lo
	;; [unrolled: 2-line block ×4, first 2 shown]
	global_store_dwordx4 v[84:85], v[24:27], off offset:672
	global_store_dwordx4 v[110:111], v[20:23], off offset:2016
	;; [unrolled: 1-line block ×9, first 2 shown]
	global_store_dwordx4 v[82:83], v[40:43], off
	global_store_dwordx4 v[54:55], v[28:31], off offset:576
	s_endpgm
	.section	.rodata,"a",@progbits
	.p2align	6, 0x0
	.amdhsa_kernel fft_rtc_back_len1870_factors_17_10_11_wgs_187_tpt_187_halfLds_dp_ip_CI_unitstride_sbrr_dirReg
		.amdhsa_group_segment_fixed_size 0
		.amdhsa_private_segment_fixed_size 0
		.amdhsa_kernarg_size 88
		.amdhsa_user_sgpr_count 6
		.amdhsa_user_sgpr_private_segment_buffer 1
		.amdhsa_user_sgpr_dispatch_ptr 0
		.amdhsa_user_sgpr_queue_ptr 0
		.amdhsa_user_sgpr_kernarg_segment_ptr 1
		.amdhsa_user_sgpr_dispatch_id 0
		.amdhsa_user_sgpr_flat_scratch_init 0
		.amdhsa_user_sgpr_private_segment_size 0
		.amdhsa_wavefront_size32 1
		.amdhsa_uses_dynamic_stack 0
		.amdhsa_system_sgpr_private_segment_wavefront_offset 0
		.amdhsa_system_sgpr_workgroup_id_x 1
		.amdhsa_system_sgpr_workgroup_id_y 0
		.amdhsa_system_sgpr_workgroup_id_z 0
		.amdhsa_system_sgpr_workgroup_info 0
		.amdhsa_system_vgpr_workitem_id 0
		.amdhsa_next_free_vgpr 248
		.amdhsa_next_free_sgpr 56
		.amdhsa_reserve_vcc 1
		.amdhsa_reserve_flat_scratch 0
		.amdhsa_float_round_mode_32 0
		.amdhsa_float_round_mode_16_64 0
		.amdhsa_float_denorm_mode_32 3
		.amdhsa_float_denorm_mode_16_64 3
		.amdhsa_dx10_clamp 1
		.amdhsa_ieee_mode 1
		.amdhsa_fp16_overflow 0
		.amdhsa_workgroup_processor_mode 1
		.amdhsa_memory_ordered 1
		.amdhsa_forward_progress 0
		.amdhsa_shared_vgpr_count 0
		.amdhsa_exception_fp_ieee_invalid_op 0
		.amdhsa_exception_fp_denorm_src 0
		.amdhsa_exception_fp_ieee_div_zero 0
		.amdhsa_exception_fp_ieee_overflow 0
		.amdhsa_exception_fp_ieee_underflow 0
		.amdhsa_exception_fp_ieee_inexact 0
		.amdhsa_exception_int_div_zero 0
	.end_amdhsa_kernel
	.text
.Lfunc_end0:
	.size	fft_rtc_back_len1870_factors_17_10_11_wgs_187_tpt_187_halfLds_dp_ip_CI_unitstride_sbrr_dirReg, .Lfunc_end0-fft_rtc_back_len1870_factors_17_10_11_wgs_187_tpt_187_halfLds_dp_ip_CI_unitstride_sbrr_dirReg
                                        ; -- End function
	.section	.AMDGPU.csdata,"",@progbits
; Kernel info:
; codeLenInByte = 13860
; NumSgprs: 58
; NumVgprs: 248
; ScratchSize: 0
; MemoryBound: 1
; FloatMode: 240
; IeeeMode: 1
; LDSByteSize: 0 bytes/workgroup (compile time only)
; SGPRBlocks: 7
; VGPRBlocks: 30
; NumSGPRsForWavesPerEU: 58
; NumVGPRsForWavesPerEU: 248
; Occupancy: 4
; WaveLimiterHint : 1
; COMPUTE_PGM_RSRC2:SCRATCH_EN: 0
; COMPUTE_PGM_RSRC2:USER_SGPR: 6
; COMPUTE_PGM_RSRC2:TRAP_HANDLER: 0
; COMPUTE_PGM_RSRC2:TGID_X_EN: 1
; COMPUTE_PGM_RSRC2:TGID_Y_EN: 0
; COMPUTE_PGM_RSRC2:TGID_Z_EN: 0
; COMPUTE_PGM_RSRC2:TIDIG_COMP_CNT: 0
	.text
	.p2alignl 6, 3214868480
	.fill 48, 4, 3214868480
	.type	__hip_cuid_7a22d256edc308d0,@object ; @__hip_cuid_7a22d256edc308d0
	.section	.bss,"aw",@nobits
	.globl	__hip_cuid_7a22d256edc308d0
__hip_cuid_7a22d256edc308d0:
	.byte	0                               ; 0x0
	.size	__hip_cuid_7a22d256edc308d0, 1

	.ident	"AMD clang version 19.0.0git (https://github.com/RadeonOpenCompute/llvm-project roc-6.4.0 25133 c7fe45cf4b819c5991fe208aaa96edf142730f1d)"
	.section	".note.GNU-stack","",@progbits
	.addrsig
	.addrsig_sym __hip_cuid_7a22d256edc308d0
	.amdgpu_metadata
---
amdhsa.kernels:
  - .args:
      - .actual_access:  read_only
        .address_space:  global
        .offset:         0
        .size:           8
        .value_kind:     global_buffer
      - .offset:         8
        .size:           8
        .value_kind:     by_value
      - .actual_access:  read_only
        .address_space:  global
        .offset:         16
        .size:           8
        .value_kind:     global_buffer
      - .actual_access:  read_only
        .address_space:  global
        .offset:         24
        .size:           8
        .value_kind:     global_buffer
      - .offset:         32
        .size:           8
        .value_kind:     by_value
      - .actual_access:  read_only
        .address_space:  global
        .offset:         40
        .size:           8
        .value_kind:     global_buffer
      - .actual_access:  read_only
        .address_space:  global
        .offset:         48
        .size:           8
        .value_kind:     global_buffer
      - .offset:         56
        .size:           4
        .value_kind:     by_value
      - .actual_access:  read_only
        .address_space:  global
        .offset:         64
        .size:           8
        .value_kind:     global_buffer
      - .actual_access:  read_only
        .address_space:  global
        .offset:         72
        .size:           8
        .value_kind:     global_buffer
      - .address_space:  global
        .offset:         80
        .size:           8
        .value_kind:     global_buffer
    .group_segment_fixed_size: 0
    .kernarg_segment_align: 8
    .kernarg_segment_size: 88
    .language:       OpenCL C
    .language_version:
      - 2
      - 0
    .max_flat_workgroup_size: 187
    .name:           fft_rtc_back_len1870_factors_17_10_11_wgs_187_tpt_187_halfLds_dp_ip_CI_unitstride_sbrr_dirReg
    .private_segment_fixed_size: 0
    .sgpr_count:     58
    .sgpr_spill_count: 0
    .symbol:         fft_rtc_back_len1870_factors_17_10_11_wgs_187_tpt_187_halfLds_dp_ip_CI_unitstride_sbrr_dirReg.kd
    .uniform_work_group_size: 1
    .uses_dynamic_stack: false
    .vgpr_count:     248
    .vgpr_spill_count: 0
    .wavefront_size: 32
    .workgroup_processor_mode: 1
amdhsa.target:   amdgcn-amd-amdhsa--gfx1030
amdhsa.version:
  - 1
  - 2
...

	.end_amdgpu_metadata
